;; amdgpu-corpus repo=ROCm/rocFFT kind=compiled arch=gfx1030 opt=O3
	.text
	.amdgcn_target "amdgcn-amd-amdhsa--gfx1030"
	.amdhsa_code_object_version 6
	.protected	fft_rtc_fwd_len714_factors_3_17_7_2_wgs_51_tpt_51_halfLds_dp_op_CI_CI_unitstride_sbrr_C2R_dirReg ; -- Begin function fft_rtc_fwd_len714_factors_3_17_7_2_wgs_51_tpt_51_halfLds_dp_op_CI_CI_unitstride_sbrr_C2R_dirReg
	.globl	fft_rtc_fwd_len714_factors_3_17_7_2_wgs_51_tpt_51_halfLds_dp_op_CI_CI_unitstride_sbrr_C2R_dirReg
	.p2align	8
	.type	fft_rtc_fwd_len714_factors_3_17_7_2_wgs_51_tpt_51_halfLds_dp_op_CI_CI_unitstride_sbrr_C2R_dirReg,@function
fft_rtc_fwd_len714_factors_3_17_7_2_wgs_51_tpt_51_halfLds_dp_op_CI_CI_unitstride_sbrr_C2R_dirReg: ; @fft_rtc_fwd_len714_factors_3_17_7_2_wgs_51_tpt_51_halfLds_dp_op_CI_CI_unitstride_sbrr_C2R_dirReg
; %bb.0:
	s_clause 0x2
	s_load_dwordx4 s[12:15], s[4:5], 0x0
	s_load_dwordx4 s[8:11], s[4:5], 0x58
	;; [unrolled: 1-line block ×3, first 2 shown]
	v_mul_u32_u24_e32 v1, 0x506, v0
	v_mov_b32_e32 v3, 0
	v_add_nc_u32_sdwa v5, s6, v1 dst_sel:DWORD dst_unused:UNUSED_PAD src0_sel:DWORD src1_sel:WORD_1
	v_mov_b32_e32 v1, 0
	v_mov_b32_e32 v6, v3
	v_mov_b32_e32 v2, 0
	s_waitcnt lgkmcnt(0)
	v_cmp_lt_u64_e64 s0, s[14:15], 2
	s_and_b32 vcc_lo, exec_lo, s0
	s_cbranch_vccnz .LBB0_8
; %bb.1:
	s_load_dwordx2 s[0:1], s[4:5], 0x10
	v_mov_b32_e32 v1, 0
	v_mov_b32_e32 v2, 0
	s_add_u32 s2, s18, 8
	s_addc_u32 s3, s19, 0
	s_add_u32 s6, s16, 8
	s_addc_u32 s7, s17, 0
	v_mov_b32_e32 v81, v2
	v_mov_b32_e32 v80, v1
	s_mov_b64 s[22:23], 1
	s_waitcnt lgkmcnt(0)
	s_add_u32 s20, s0, 8
	s_addc_u32 s21, s1, 0
.LBB0_2:                                ; =>This Inner Loop Header: Depth=1
	s_load_dwordx2 s[24:25], s[20:21], 0x0
                                        ; implicit-def: $vgpr84_vgpr85
	s_mov_b32 s0, exec_lo
	s_waitcnt lgkmcnt(0)
	v_or_b32_e32 v4, s25, v6
	v_cmpx_ne_u64_e32 0, v[3:4]
	s_xor_b32 s1, exec_lo, s0
	s_cbranch_execz .LBB0_4
; %bb.3:                                ;   in Loop: Header=BB0_2 Depth=1
	v_cvt_f32_u32_e32 v4, s24
	v_cvt_f32_u32_e32 v7, s25
	s_sub_u32 s0, 0, s24
	s_subb_u32 s26, 0, s25
	v_fmac_f32_e32 v4, 0x4f800000, v7
	v_rcp_f32_e32 v4, v4
	v_mul_f32_e32 v4, 0x5f7ffffc, v4
	v_mul_f32_e32 v7, 0x2f800000, v4
	v_trunc_f32_e32 v7, v7
	v_fmac_f32_e32 v4, 0xcf800000, v7
	v_cvt_u32_f32_e32 v7, v7
	v_cvt_u32_f32_e32 v4, v4
	v_mul_lo_u32 v8, s0, v7
	v_mul_hi_u32 v9, s0, v4
	v_mul_lo_u32 v10, s26, v4
	v_add_nc_u32_e32 v8, v9, v8
	v_mul_lo_u32 v9, s0, v4
	v_add_nc_u32_e32 v8, v8, v10
	v_mul_hi_u32 v10, v4, v9
	v_mul_lo_u32 v11, v4, v8
	v_mul_hi_u32 v12, v4, v8
	v_mul_hi_u32 v13, v7, v9
	v_mul_lo_u32 v9, v7, v9
	v_mul_hi_u32 v14, v7, v8
	v_mul_lo_u32 v8, v7, v8
	v_add_co_u32 v10, vcc_lo, v10, v11
	v_add_co_ci_u32_e32 v11, vcc_lo, 0, v12, vcc_lo
	v_add_co_u32 v9, vcc_lo, v10, v9
	v_add_co_ci_u32_e32 v9, vcc_lo, v11, v13, vcc_lo
	v_add_co_ci_u32_e32 v10, vcc_lo, 0, v14, vcc_lo
	v_add_co_u32 v8, vcc_lo, v9, v8
	v_add_co_ci_u32_e32 v9, vcc_lo, 0, v10, vcc_lo
	v_add_co_u32 v4, vcc_lo, v4, v8
	v_add_co_ci_u32_e32 v7, vcc_lo, v7, v9, vcc_lo
	v_mul_hi_u32 v8, s0, v4
	v_mul_lo_u32 v10, s26, v4
	v_mul_lo_u32 v9, s0, v7
	v_add_nc_u32_e32 v8, v8, v9
	v_mul_lo_u32 v9, s0, v4
	v_add_nc_u32_e32 v8, v8, v10
	v_mul_hi_u32 v10, v4, v9
	v_mul_lo_u32 v11, v4, v8
	v_mul_hi_u32 v12, v4, v8
	v_mul_hi_u32 v13, v7, v9
	v_mul_lo_u32 v9, v7, v9
	v_mul_hi_u32 v14, v7, v8
	v_mul_lo_u32 v8, v7, v8
	v_add_co_u32 v10, vcc_lo, v10, v11
	v_add_co_ci_u32_e32 v11, vcc_lo, 0, v12, vcc_lo
	v_add_co_u32 v9, vcc_lo, v10, v9
	v_add_co_ci_u32_e32 v9, vcc_lo, v11, v13, vcc_lo
	v_add_co_ci_u32_e32 v10, vcc_lo, 0, v14, vcc_lo
	v_add_co_u32 v8, vcc_lo, v9, v8
	v_add_co_ci_u32_e32 v9, vcc_lo, 0, v10, vcc_lo
	v_add_co_u32 v4, vcc_lo, v4, v8
	v_add_co_ci_u32_e32 v11, vcc_lo, v7, v9, vcc_lo
	v_mul_hi_u32 v13, v5, v4
	v_mad_u64_u32 v[9:10], null, v6, v4, 0
	v_mad_u64_u32 v[7:8], null, v5, v11, 0
	;; [unrolled: 1-line block ×3, first 2 shown]
	v_add_co_u32 v4, vcc_lo, v13, v7
	v_add_co_ci_u32_e32 v7, vcc_lo, 0, v8, vcc_lo
	v_add_co_u32 v4, vcc_lo, v4, v9
	v_add_co_ci_u32_e32 v4, vcc_lo, v7, v10, vcc_lo
	v_add_co_ci_u32_e32 v7, vcc_lo, 0, v12, vcc_lo
	v_add_co_u32 v4, vcc_lo, v4, v11
	v_add_co_ci_u32_e32 v9, vcc_lo, 0, v7, vcc_lo
	v_mul_lo_u32 v10, s25, v4
	v_mad_u64_u32 v[7:8], null, s24, v4, 0
	v_mul_lo_u32 v11, s24, v9
	v_sub_co_u32 v7, vcc_lo, v5, v7
	v_add3_u32 v8, v8, v11, v10
	v_sub_nc_u32_e32 v10, v6, v8
	v_subrev_co_ci_u32_e64 v10, s0, s25, v10, vcc_lo
	v_add_co_u32 v11, s0, v4, 2
	v_add_co_ci_u32_e64 v12, s0, 0, v9, s0
	v_sub_co_u32 v13, s0, v7, s24
	v_sub_co_ci_u32_e32 v8, vcc_lo, v6, v8, vcc_lo
	v_subrev_co_ci_u32_e64 v10, s0, 0, v10, s0
	v_cmp_le_u32_e32 vcc_lo, s24, v13
	v_cmp_eq_u32_e64 s0, s25, v8
	v_cndmask_b32_e64 v13, 0, -1, vcc_lo
	v_cmp_le_u32_e32 vcc_lo, s25, v10
	v_cndmask_b32_e64 v14, 0, -1, vcc_lo
	v_cmp_le_u32_e32 vcc_lo, s24, v7
	;; [unrolled: 2-line block ×3, first 2 shown]
	v_cndmask_b32_e64 v15, 0, -1, vcc_lo
	v_cmp_eq_u32_e32 vcc_lo, s25, v10
	v_cndmask_b32_e64 v7, v15, v7, s0
	v_cndmask_b32_e32 v10, v14, v13, vcc_lo
	v_add_co_u32 v13, vcc_lo, v4, 1
	v_add_co_ci_u32_e32 v14, vcc_lo, 0, v9, vcc_lo
	v_cmp_ne_u32_e32 vcc_lo, 0, v10
	v_cndmask_b32_e32 v8, v14, v12, vcc_lo
	v_cndmask_b32_e32 v10, v13, v11, vcc_lo
	v_cmp_ne_u32_e32 vcc_lo, 0, v7
	v_cndmask_b32_e32 v85, v9, v8, vcc_lo
	v_cndmask_b32_e32 v84, v4, v10, vcc_lo
.LBB0_4:                                ;   in Loop: Header=BB0_2 Depth=1
	s_andn2_saveexec_b32 s0, s1
	s_cbranch_execz .LBB0_6
; %bb.5:                                ;   in Loop: Header=BB0_2 Depth=1
	v_cvt_f32_u32_e32 v4, s24
	s_sub_i32 s1, 0, s24
	v_mov_b32_e32 v85, v3
	v_rcp_iflag_f32_e32 v4, v4
	v_mul_f32_e32 v4, 0x4f7ffffe, v4
	v_cvt_u32_f32_e32 v4, v4
	v_mul_lo_u32 v7, s1, v4
	v_mul_hi_u32 v7, v4, v7
	v_add_nc_u32_e32 v4, v4, v7
	v_mul_hi_u32 v4, v5, v4
	v_mul_lo_u32 v7, v4, s24
	v_add_nc_u32_e32 v8, 1, v4
	v_sub_nc_u32_e32 v7, v5, v7
	v_subrev_nc_u32_e32 v9, s24, v7
	v_cmp_le_u32_e32 vcc_lo, s24, v7
	v_cndmask_b32_e32 v7, v7, v9, vcc_lo
	v_cndmask_b32_e32 v4, v4, v8, vcc_lo
	v_cmp_le_u32_e32 vcc_lo, s24, v7
	v_add_nc_u32_e32 v8, 1, v4
	v_cndmask_b32_e32 v84, v4, v8, vcc_lo
.LBB0_6:                                ;   in Loop: Header=BB0_2 Depth=1
	s_or_b32 exec_lo, exec_lo, s0
	v_mul_lo_u32 v4, v85, s24
	v_mul_lo_u32 v9, v84, s25
	s_load_dwordx2 s[0:1], s[6:7], 0x0
	v_mad_u64_u32 v[7:8], null, v84, s24, 0
	s_load_dwordx2 s[24:25], s[2:3], 0x0
	s_add_u32 s22, s22, 1
	s_addc_u32 s23, s23, 0
	s_add_u32 s2, s2, 8
	s_addc_u32 s3, s3, 0
	s_add_u32 s6, s6, 8
	v_add3_u32 v4, v8, v9, v4
	v_sub_co_u32 v5, vcc_lo, v5, v7
	s_addc_u32 s7, s7, 0
	s_add_u32 s20, s20, 8
	v_sub_co_ci_u32_e32 v4, vcc_lo, v6, v4, vcc_lo
	s_addc_u32 s21, s21, 0
	s_waitcnt lgkmcnt(0)
	v_mul_lo_u32 v6, s0, v4
	v_mul_lo_u32 v7, s1, v5
	v_mad_u64_u32 v[1:2], null, s0, v5, v[1:2]
	v_mul_lo_u32 v4, s24, v4
	v_mul_lo_u32 v8, s25, v5
	v_mad_u64_u32 v[80:81], null, s24, v5, v[80:81]
	v_cmp_ge_u64_e64 s0, s[22:23], s[14:15]
	v_add3_u32 v2, v7, v2, v6
	v_add3_u32 v81, v8, v81, v4
	s_and_b32 vcc_lo, exec_lo, s0
	s_cbranch_vccnz .LBB0_9
; %bb.7:                                ;   in Loop: Header=BB0_2 Depth=1
	v_mov_b32_e32 v5, v84
	v_mov_b32_e32 v6, v85
	s_branch .LBB0_2
.LBB0_8:
	v_mov_b32_e32 v81, v2
	v_mov_b32_e32 v85, v6
	;; [unrolled: 1-line block ×4, first 2 shown]
.LBB0_9:
	s_load_dwordx2 s[0:1], s[4:5], 0x28
	v_mul_hi_u32 v3, 0x5050506, v0
	s_lshl_b64 s[4:5], s[14:15], 3
                                        ; implicit-def: $vgpr82
                                        ; implicit-def: $vgpr4_vgpr5
	s_add_u32 s2, s18, s4
	s_addc_u32 s3, s19, s5
	s_waitcnt lgkmcnt(0)
	v_cmp_gt_u64_e32 vcc_lo, s[0:1], v[84:85]
	v_cmp_le_u64_e64 s0, s[0:1], v[84:85]
	s_and_saveexec_b32 s1, s0
	s_xor_b32 s0, exec_lo, s1
; %bb.10:
	v_mul_u32_u24_e32 v1, 51, v3
	v_mov_b32_e32 v83, 0
                                        ; implicit-def: $vgpr3
	v_sub_nc_u32_e32 v82, v0, v1
                                        ; implicit-def: $vgpr0
                                        ; implicit-def: $vgpr1_vgpr2
	v_mov_b32_e32 v4, v82
	v_mov_b32_e32 v5, v83
; %bb.11:
	s_or_saveexec_b32 s1, s0
	s_load_dwordx2 s[2:3], s[2:3], 0x0
	s_xor_b32 exec_lo, exec_lo, s1
	s_cbranch_execz .LBB0_15
; %bb.12:
	s_add_u32 s4, s16, s4
	s_addc_u32 s5, s17, s5
	v_lshlrev_b64 v[1:2], 4, v[1:2]
	s_load_dwordx2 s[4:5], s[4:5], 0x0
	v_mov_b32_e32 v83, 0
	s_waitcnt lgkmcnt(0)
	v_mul_lo_u32 v6, s5, v84
	v_mul_lo_u32 v7, s4, v85
	v_mad_u64_u32 v[4:5], null, s4, v84, 0
	s_mov_b32 s4, exec_lo
	v_add3_u32 v5, v5, v7, v6
	v_mul_u32_u24_e32 v6, 51, v3
	v_lshlrev_b64 v[3:4], 4, v[4:5]
	v_sub_nc_u32_e32 v82, v0, v6
	v_lshlrev_b32_e32 v62, 4, v82
	v_add_co_u32 v0, s0, s8, v3
	v_add_co_ci_u32_e64 v3, s0, s9, v4, s0
	v_add_co_u32 v0, s0, v0, v1
	v_add_co_ci_u32_e64 v1, s0, v3, v2, s0
	v_add_co_u32 v2, s0, v0, v62
	v_add_co_ci_u32_e64 v3, s0, 0, v1, s0
	s_clause 0x1
	global_load_dwordx4 v[6:9], v[2:3], off
	global_load_dwordx4 v[10:13], v[2:3], off offset:816
	v_add_co_u32 v4, s0, 0x800, v2
	v_add_co_ci_u32_e64 v5, s0, 0, v3, s0
	v_add_co_u32 v34, s0, 0x1000, v2
	v_add_co_ci_u32_e64 v35, s0, 0, v3, s0
	;; [unrolled: 2-line block ×5, first 2 shown]
	s_clause 0xb
	global_load_dwordx4 v[14:17], v[2:3], off offset:1632
	global_load_dwordx4 v[18:21], v[4:5], off offset:400
	;; [unrolled: 1-line block ×12, first 2 shown]
	v_mov_b32_e32 v4, v82
	v_add_nc_u32_e32 v2, 0, v62
	v_mov_b32_e32 v5, v83
	s_waitcnt vmcnt(13)
	ds_write_b128 v2, v[6:9]
	s_waitcnt vmcnt(12)
	ds_write_b128 v2, v[10:13] offset:816
	s_waitcnt vmcnt(11)
	ds_write_b128 v2, v[14:17] offset:1632
	;; [unrolled: 2-line block ×13, first 2 shown]
	v_cmpx_eq_u32_e32 50, v82
	s_cbranch_execz .LBB0_14
; %bb.13:
	v_add_co_u32 v0, s0, 0x2800, v0
	v_add_co_ci_u32_e64 v1, s0, 0, v1, s0
	v_mov_b32_e32 v4, 50
	v_mov_b32_e32 v5, 0
	;; [unrolled: 1-line block ×3, first 2 shown]
	global_load_dwordx4 v[0:3], v[0:1], off offset:1184
	s_waitcnt vmcnt(0)
	ds_write_b128 v83, v[0:3] offset:11424
.LBB0_14:
	s_or_b32 exec_lo, exec_lo, s4
.LBB0_15:
	s_or_b32 exec_lo, exec_lo, s1
	v_lshlrev_b32_e32 v0, 4, v82
	s_waitcnt lgkmcnt(0)
	s_barrier
	buffer_gl0_inv
	v_lshlrev_b64 v[86:87], 4, v[4:5]
	v_add_nc_u32_e32 v198, 0, v0
	v_sub_nc_u32_e32 v10, 0, v0
	s_add_u32 s1, s12, 0x2c70
	s_addc_u32 s4, s13, 0
	s_mov_b32 s5, exec_lo
	ds_read_b64 v[6:7], v198
	ds_read_b64 v[8:9], v10 offset:11424
	s_waitcnt lgkmcnt(0)
	v_add_f64 v[0:1], v[6:7], v[8:9]
	v_add_f64 v[2:3], v[6:7], -v[8:9]
	v_cmpx_ne_u32_e32 0, v82
	s_xor_b32 s5, exec_lo, s5
	s_cbranch_execz .LBB0_17
; %bb.16:
	v_add_co_u32 v0, s0, s1, v86
	v_add_co_ci_u32_e64 v1, s0, s4, v87, s0
	v_add_f64 v[13:14], v[6:7], v[8:9]
	v_add_f64 v[8:9], v[6:7], -v[8:9]
	global_load_dwordx4 v[2:5], v[0:1], off
	ds_read_b64 v[0:1], v10 offset:11432
	ds_read_b64 v[11:12], v198 offset:8
	s_waitcnt lgkmcnt(0)
	v_add_f64 v[6:7], v[0:1], v[11:12]
	v_add_f64 v[0:1], v[11:12], -v[0:1]
	s_waitcnt vmcnt(0)
	v_fma_f64 v[11:12], v[8:9], v[4:5], v[13:14]
	v_fma_f64 v[13:14], -v[8:9], v[4:5], v[13:14]
	v_fma_f64 v[15:16], v[6:7], v[4:5], -v[0:1]
	v_fma_f64 v[17:18], v[6:7], v[4:5], v[0:1]
	v_fma_f64 v[0:1], -v[6:7], v[2:3], v[11:12]
	v_fma_f64 v[4:5], v[6:7], v[2:3], v[13:14]
	v_fma_f64 v[6:7], v[8:9], v[2:3], v[15:16]
	v_fma_f64 v[2:3], v[8:9], v[2:3], v[17:18]
	ds_write_b128 v10, v[4:7] offset:11424
.LBB0_17:
	s_andn2_saveexec_b32 s0, s5
	s_cbranch_execz .LBB0_19
; %bb.18:
	v_mov_b32_e32 v8, 0
	ds_read_b128 v[4:7], v8 offset:5712
	s_waitcnt lgkmcnt(0)
	v_add_f64 v[4:5], v[4:5], v[4:5]
	v_mul_f64 v[6:7], v[6:7], -2.0
	ds_write_b128 v8, v[4:7] offset:5712
.LBB0_19:
	s_or_b32 exec_lo, exec_lo, s0
	v_mov_b32_e32 v83, 0
	s_mov_b32 s5, 0xbfebb67a
	v_lshlrev_b64 v[88:89], 4, v[82:83]
	v_add_co_u32 v27, s0, s1, v88
	v_add_co_ci_u32_e64 v28, s0, s4, v89, s0
	s_clause 0x1
	global_load_dwordx4 v[4:7], v[27:28], off offset:816
	global_load_dwordx4 v[11:14], v[27:28], off offset:1632
	v_add_co_u32 v29, s0, 0x800, v27
	v_add_co_ci_u32_e64 v30, s0, 0, v28, s0
	ds_write_b128 v198, v[0:3]
	global_load_dwordx4 v[15:18], v[29:30], off offset:400
	ds_read_b128 v[0:3], v198 offset:816
	ds_read_b128 v[19:22], v10 offset:10608
	global_load_dwordx4 v[23:26], v[29:30], off offset:1216
	s_waitcnt lgkmcnt(0)
	v_add_f64 v[8:9], v[0:1], v[19:20]
	v_add_f64 v[31:32], v[21:22], v[2:3]
	v_add_f64 v[19:20], v[0:1], -v[19:20]
	v_add_f64 v[0:1], v[2:3], -v[21:22]
	s_waitcnt vmcnt(3)
	v_fma_f64 v[2:3], v[19:20], v[6:7], v[8:9]
	v_fma_f64 v[21:22], v[31:32], v[6:7], v[0:1]
	v_fma_f64 v[8:9], -v[19:20], v[6:7], v[8:9]
	v_fma_f64 v[33:34], v[31:32], v[6:7], -v[0:1]
	v_fma_f64 v[0:1], -v[31:32], v[4:5], v[2:3]
	v_fma_f64 v[2:3], v[19:20], v[4:5], v[21:22]
	v_fma_f64 v[6:7], v[31:32], v[4:5], v[8:9]
	;; [unrolled: 1-line block ×3, first 2 shown]
	ds_write_b128 v198, v[0:3] offset:816
	ds_write_b128 v10, v[6:9] offset:10608
	ds_read_b128 v[0:3], v198 offset:1632
	ds_read_b128 v[4:7], v10 offset:9792
	global_load_dwordx4 v[19:22], v[29:30], off offset:2032
	s_waitcnt lgkmcnt(0)
	v_add_f64 v[8:9], v[0:1], v[4:5]
	v_add_f64 v[29:30], v[6:7], v[2:3]
	v_add_f64 v[31:32], v[0:1], -v[4:5]
	v_add_f64 v[0:1], v[2:3], -v[6:7]
	s_waitcnt vmcnt(3)
	v_fma_f64 v[2:3], v[31:32], v[13:14], v[8:9]
	v_fma_f64 v[4:5], v[29:30], v[13:14], v[0:1]
	v_fma_f64 v[6:7], -v[31:32], v[13:14], v[8:9]
	v_fma_f64 v[8:9], v[29:30], v[13:14], -v[0:1]
	v_fma_f64 v[0:1], -v[29:30], v[11:12], v[2:3]
	v_fma_f64 v[2:3], v[31:32], v[11:12], v[4:5]
	v_fma_f64 v[4:5], v[29:30], v[11:12], v[6:7]
	;; [unrolled: 1-line block ×3, first 2 shown]
	v_add_co_u32 v8, s0, 0x1000, v27
	v_add_co_ci_u32_e64 v9, s0, 0, v28, s0
	s_mov_b32 s0, 0xe8584caa
	s_mov_b32 s1, 0x3febb67a
	;; [unrolled: 1-line block ×3, first 2 shown]
	ds_write_b128 v198, v[0:3] offset:1632
	ds_write_b128 v10, v[4:7] offset:9792
	ds_read_b128 v[0:3], v198 offset:2448
	ds_read_b128 v[4:7], v10 offset:8976
	global_load_dwordx4 v[11:14], v[8:9], off offset:800
	s_waitcnt lgkmcnt(0)
	v_add_f64 v[8:9], v[0:1], v[4:5]
	v_add_f64 v[27:28], v[6:7], v[2:3]
	v_add_f64 v[29:30], v[0:1], -v[4:5]
	v_add_f64 v[0:1], v[2:3], -v[6:7]
	s_waitcnt vmcnt(3)
	v_fma_f64 v[2:3], v[29:30], v[17:18], v[8:9]
	v_fma_f64 v[4:5], v[27:28], v[17:18], v[0:1]
	v_fma_f64 v[6:7], -v[29:30], v[17:18], v[8:9]
	v_fma_f64 v[8:9], v[27:28], v[17:18], -v[0:1]
	v_fma_f64 v[0:1], -v[27:28], v[15:16], v[2:3]
	v_fma_f64 v[2:3], v[29:30], v[15:16], v[4:5]
	v_fma_f64 v[4:5], v[27:28], v[15:16], v[6:7]
	v_fma_f64 v[6:7], v[29:30], v[15:16], v[8:9]
	ds_write_b128 v198, v[0:3] offset:2448
	ds_write_b128 v10, v[4:7] offset:8976
	ds_read_b128 v[0:3], v198 offset:3264
	ds_read_b128 v[4:7], v10 offset:8160
	s_waitcnt lgkmcnt(0)
	v_add_f64 v[8:9], v[0:1], v[4:5]
	v_add_f64 v[15:16], v[6:7], v[2:3]
	v_add_f64 v[17:18], v[0:1], -v[4:5]
	v_add_f64 v[0:1], v[2:3], -v[6:7]
	s_waitcnt vmcnt(2)
	v_fma_f64 v[2:3], v[17:18], v[25:26], v[8:9]
	v_fma_f64 v[4:5], v[15:16], v[25:26], v[0:1]
	v_fma_f64 v[6:7], -v[17:18], v[25:26], v[8:9]
	v_fma_f64 v[8:9], v[15:16], v[25:26], -v[0:1]
	v_fma_f64 v[0:1], -v[15:16], v[23:24], v[2:3]
	v_fma_f64 v[2:3], v[17:18], v[23:24], v[4:5]
	v_fma_f64 v[4:5], v[15:16], v[23:24], v[6:7]
	v_fma_f64 v[6:7], v[17:18], v[23:24], v[8:9]
	ds_write_b128 v198, v[0:3] offset:3264
	ds_write_b128 v10, v[4:7] offset:8160
	ds_read_b128 v[0:3], v198 offset:4080
	ds_read_b128 v[4:7], v10 offset:7344
	;; [unrolled: 18-line block ×3, first 2 shown]
	s_waitcnt lgkmcnt(0)
	v_add_f64 v[8:9], v[0:1], v[4:5]
	v_add_f64 v[15:16], v[6:7], v[2:3]
	v_add_f64 v[17:18], v[0:1], -v[4:5]
	v_add_f64 v[0:1], v[2:3], -v[6:7]
	s_waitcnt vmcnt(0)
	v_fma_f64 v[2:3], v[17:18], v[13:14], v[8:9]
	v_fma_f64 v[4:5], v[15:16], v[13:14], v[0:1]
	v_fma_f64 v[6:7], -v[17:18], v[13:14], v[8:9]
	v_fma_f64 v[8:9], v[15:16], v[13:14], -v[0:1]
	v_fma_f64 v[0:1], -v[15:16], v[11:12], v[2:3]
	v_fma_f64 v[2:3], v[17:18], v[11:12], v[4:5]
	v_fma_f64 v[4:5], v[15:16], v[11:12], v[6:7]
	;; [unrolled: 1-line block ×3, first 2 shown]
	ds_write_b128 v198, v[0:3] offset:4896
	ds_write_b128 v10, v[4:7] offset:6528
	s_waitcnt lgkmcnt(0)
	s_barrier
	buffer_gl0_inv
	s_barrier
	buffer_gl0_inv
	ds_read_b128 v[0:3], v198 offset:3808
	ds_read_b128 v[4:7], v198
	ds_read_b128 v[8:11], v198 offset:816
	ds_read_b128 v[12:15], v198 offset:4624
	;; [unrolled: 1-line block ×13, first 2 shown]
	s_waitcnt lgkmcnt(0)
	s_barrier
	buffer_gl0_inv
	v_add_f64 v[78:79], v[28:29], v[24:25]
	v_add_f64 v[90:91], v[30:31], v[26:27]
	;; [unrolled: 1-line block ×7, first 2 shown]
	v_add_f64 v[70:71], v[2:3], -v[18:19]
	v_add_f64 v[2:3], v[2:3], v[18:19]
	v_add_f64 v[72:73], v[0:1], -v[16:17]
	v_add_f64 v[0:1], v[12:13], v[20:21]
	;; [unrolled: 2-line block ×5, first 2 shown]
	v_add_f64 v[94:95], v[48:49], v[44:45]
	v_add_f64 v[98:99], v[50:51], v[46:47]
	;; [unrolled: 1-line block ×4, first 2 shown]
	v_add_f64 v[24:25], v[24:25], -v[32:33]
	v_add_f64 v[96:97], v[40:41], v[48:49]
	v_add_f64 v[100:101], v[42:43], v[50:51]
	v_add_f64 v[50:51], v[50:51], -v[46:47]
	v_add_f64 v[106:107], v[48:49], -v[44:45]
	v_add_f64 v[48:49], v[36:37], v[52:53]
	v_add_f64 v[108:109], v[38:39], v[54:55]
	v_fma_f64 v[68:69], v[68:69], -0.5, v[4:5]
	v_add_f64 v[110:111], v[54:55], -v[62:63]
	v_fma_f64 v[54:55], v[2:3], -0.5, v[6:7]
	v_add_f64 v[112:113], v[52:53], -v[60:61]
	v_fma_f64 v[52:53], v[0:1], -0.5, v[8:9]
	v_add_f64 v[32:33], v[78:79], v[32:33]
	v_fma_f64 v[114:115], v[14:15], -0.5, v[10:11]
	v_add_f64 v[0:1], v[56:57], v[16:17]
	;; [unrolled: 2-line block ×3, first 2 shown]
	v_fma_f64 v[26:27], v[26:27], -0.5, v[30:31]
	v_fma_f64 v[30:31], v[94:95], -0.5, v[40:41]
	;; [unrolled: 1-line block ×5, first 2 shown]
	v_add_f64 v[12:13], v[64:65], v[20:21]
	v_add_f64 v[14:15], v[66:67], v[22:23]
	;; [unrolled: 1-line block ×7, first 2 shown]
	v_fma_f64 v[4:5], v[70:71], s[0:1], v[68:69]
	v_fma_f64 v[8:9], v[70:71], s[4:5], v[68:69]
	;; [unrolled: 1-line block ×20, first 2 shown]
	v_lshlrev_b32_e32 v36, 5, v82
	s_mov_b32 s1, exec_lo
	v_add_nc_u32_e32 v36, v198, v36
	ds_write_b128 v36, v[0:3]
	ds_write_b128 v36, v[12:15] offset:2448
	ds_write_b128 v36, v[32:35] offset:4896
	;; [unrolled: 1-line block ×11, first 2 shown]
	v_cmpx_gt_u32_e32 34, v82
	s_cbranch_execz .LBB0_21
; %bb.20:
	ds_write_b128 v36, v[40:43] offset:9792
	ds_write_b128 v36, v[24:27] offset:9808
	ds_write_b128 v36, v[28:31] offset:9824
.LBB0_21:
	s_or_b32 exec_lo, exec_lo, s1
	v_cmp_gt_u32_e64 s0, 42, v82
	s_waitcnt lgkmcnt(0)
	s_barrier
	buffer_gl0_inv
                                        ; implicit-def: $vgpr38_vgpr39
                                        ; implicit-def: $vgpr46_vgpr47
	s_and_saveexec_b32 s1, s0
	s_cbranch_execz .LBB0_23
; %bb.22:
	ds_read_b128 v[0:3], v198
	ds_read_b128 v[4:7], v198 offset:672
	ds_read_b128 v[8:11], v198 offset:1344
	;; [unrolled: 1-line block ×16, first 2 shown]
.LBB0_23:
	s_or_b32 exec_lo, exec_lo, s1
	s_waitcnt lgkmcnt(0)
	s_barrier
	buffer_gl0_inv
	s_and_saveexec_b32 s33, s0
	s_cbranch_execz .LBB0_25
; %bb.24:
	v_and_b32_e32 v68, 0xff, v82
	s_mov_b32 s0, 0x7faef3
	s_mov_b32 s1, 0xbfef7484
	s_mov_b32 s4, 0x370991
	s_mov_b32 s18, 0xacd6c6b4
	v_mul_lo_u16 v68, 0xab, v68
	s_mov_b32 s5, 0x3fedd6d0
	s_mov_b32 s19, 0x3fc7851a
	;; [unrolled: 1-line block ×4, first 2 shown]
	v_lshrrev_b16 v83, 9, v68
	s_mov_b32 s9, 0xbfc7851a
	s_mov_b32 s8, s18
	s_mov_b32 s41, 0x3fd71e95
	s_mov_b32 s40, s6
	v_mul_lo_u16 v68, v83, 3
	s_mov_b32 s14, 0x910ea3b9
	s_mov_b32 s15, 0xbfeb34fa
	;; [unrolled: 1-line block ×4, first 2 shown]
	v_sub_nc_u16 v199, v82, v68
	v_mov_b32_e32 v68, 8
	s_mov_b32 s17, 0xbfe0d888
	s_mov_b32 s16, s44
	;; [unrolled: 1-line block ×4, first 2 shown]
	v_lshlrev_b32_sdwa v120, v68, v199 dst_sel:DWORD dst_unused:UNUSED_PAD src0_sel:DWORD src1_sel:BYTE_0
	s_mov_b32 s22, 0x2a9d6da3
	s_mov_b32 s23, 0xbfe58eea
	s_mov_b32 s47, 0x3fe58eea
	s_clause 0x1
	global_load_dwordx4 v[70:73], v120, s[12:13] offset:112
	global_load_dwordx4 v[76:79], v120, s[12:13] offset:96
	s_mov_b32 s46, s22
	s_mov_b32 s24, 0x6ed5f1bb
	;; [unrolled: 1-line block ×25, first 2 shown]
	s_waitcnt vmcnt(1)
	v_mul_f64 v[68:69], v[64:65], v[72:73]
	v_fma_f64 v[68:69], v[66:67], v[70:71], v[68:69]
	v_mul_f64 v[66:67], v[66:67], v[72:73]
	v_fma_f64 v[64:65], v[64:65], v[70:71], -v[66:67]
	s_clause 0x1
	global_load_dwordx4 v[70:73], v120, s[12:13] offset:128
	global_load_dwordx4 v[90:93], v120, s[12:13] offset:144
	s_waitcnt vmcnt(1)
	v_mul_f64 v[66:67], v[56:57], v[72:73]
	v_fma_f64 v[66:67], v[58:59], v[70:71], v[66:67]
	v_mul_f64 v[58:59], v[58:59], v[72:73]
	v_add_f64 v[192:193], v[68:69], v[66:67]
	v_fma_f64 v[70:71], v[56:57], v[70:71], -v[58:59]
	v_mul_f64 v[56:57], v[52:53], v[78:79]
	v_add_f64 v[194:195], v[68:69], -v[66:67]
	v_mul_f64 v[202:203], v[192:193], s[24:25]
	v_add_f64 v[166:167], v[64:65], -v[70:71]
	v_fma_f64 v[74:75], v[54:55], v[76:77], v[56:57]
	v_mul_f64 v[54:55], v[54:55], v[78:79]
	v_add_f64 v[168:169], v[64:65], v[70:71]
	v_mul_f64 v[204:205], v[194:195], s[26:27]
	v_mul_f64 v[210:211], v[192:193], s[20:21]
	;; [unrolled: 1-line block ×7, first 2 shown]
	v_fma_f64 v[76:77], v[52:53], v[76:77], -v[54:55]
	s_waitcnt vmcnt(0)
	v_mul_f64 v[52:53], v[60:61], v[92:93]
	v_fma_f64 v[72:73], v[62:63], v[90:91], v[52:53]
	v_mul_f64 v[52:53], v[62:63], v[92:93]
	v_add_f64 v[196:197], v[74:75], v[72:73]
	v_fma_f64 v[60:61], v[60:61], v[90:91], -v[52:53]
	s_clause 0x1
	global_load_dwordx4 v[52:55], v120, s[12:13] offset:80
	global_load_dwordx4 v[56:59], v120, s[12:13] offset:64
	v_add_f64 v[188:189], v[74:75], -v[72:73]
	v_add_f64 v[162:163], v[76:77], -v[60:61]
	v_add_f64 v[164:165], v[76:77], v[60:61]
	s_waitcnt vmcnt(1)
	v_mul_f64 v[62:63], v[32:33], v[54:55]
	v_fma_f64 v[62:63], v[34:35], v[52:53], v[62:63]
	v_mul_f64 v[34:35], v[34:35], v[54:55]
	v_fma_f64 v[78:79], v[32:33], v[52:53], -v[34:35]
	s_clause 0x1
	global_load_dwordx4 v[32:35], v120, s[12:13] offset:160
	global_load_dwordx4 v[52:55], v120, s[12:13] offset:176
	s_waitcnt vmcnt(1)
	v_mul_f64 v[90:91], v[48:49], v[34:35]
	v_mul_f64 v[34:35], v[50:51], v[34:35]
	v_fma_f64 v[90:91], v[50:51], v[32:33], v[90:91]
	v_fma_f64 v[92:93], v[48:49], v[32:33], -v[34:35]
	v_mul_f64 v[32:33], v[20:21], v[58:59]
	v_mul_f64 v[48:49], v[194:195], s[36:37]
	v_add_f64 v[190:191], v[62:63], v[90:91]
	v_add_f64 v[156:157], v[78:79], -v[92:93]
	v_fma_f64 v[98:99], v[22:23], v[56:57], v[32:33]
	v_mul_f64 v[22:23], v[22:23], v[58:59]
	v_add_f64 v[184:185], v[62:63], -v[90:91]
	v_add_f64 v[158:159], v[78:79], v[92:93]
	v_fma_f64 v[100:101], v[20:21], v[56:57], -v[22:23]
	s_waitcnt vmcnt(0)
	v_mul_f64 v[20:21], v[40:41], v[54:55]
	v_mul_f64 v[56:57], v[194:195], s[50:51]
	v_fma_f64 v[94:95], v[42:43], v[52:53], v[20:21]
	v_mul_f64 v[20:21], v[42:43], v[54:55]
	v_mul_f64 v[54:55], v[192:193], s[28:29]
	v_add_f64 v[186:187], v[98:99], v[94:95]
	v_fma_f64 v[96:97], v[40:41], v[52:53], -v[20:21]
	s_clause 0x1
	global_load_dwordx4 v[20:23], v120, s[12:13] offset:48
	global_load_dwordx4 v[32:35], v120, s[12:13] offset:32
	v_add_f64 v[180:181], v[98:99], -v[94:95]
	v_add_f64 v[150:151], v[100:101], -v[96:97]
	v_add_f64 v[152:153], v[100:101], v[96:97]
	s_waitcnt vmcnt(1)
	v_mul_f64 v[40:41], v[16:17], v[22:23]
	v_fma_f64 v[102:103], v[18:19], v[20:21], v[40:41]
	v_mul_f64 v[18:19], v[18:19], v[22:23]
	v_fma_f64 v[104:105], v[16:17], v[20:21], -v[18:19]
	s_clause 0x1
	global_load_dwordx4 v[16:19], v120, s[12:13] offset:192
	global_load_dwordx4 v[20:23], v120, s[12:13] offset:208
	s_waitcnt vmcnt(1)
	v_mul_f64 v[40:41], v[24:25], v[18:19]
	v_mul_f64 v[18:19], v[26:27], v[18:19]
	v_fma_f64 v[106:107], v[26:27], v[16:17], v[40:41]
	v_fma_f64 v[108:109], v[24:25], v[16:17], -v[18:19]
	v_mul_f64 v[16:17], v[12:13], v[34:35]
	v_mul_f64 v[40:41], v[194:195], s[54:55]
	;; [unrolled: 1-line block ×3, first 2 shown]
	v_add_f64 v[182:183], v[102:103], v[106:107]
	v_add_f64 v[144:145], v[104:105], -v[108:109]
	v_fma_f64 v[114:115], v[14:15], v[32:33], v[16:17]
	v_mul_f64 v[14:15], v[14:15], v[34:35]
	v_add_f64 v[176:177], v[102:103], -v[106:107]
	v_add_f64 v[146:147], v[104:105], v[108:109]
	v_fma_f64 v[116:117], v[12:13], v[32:33], -v[14:15]
	s_waitcnt vmcnt(0)
	v_mul_f64 v[12:13], v[28:29], v[22:23]
	v_fma_f64 v[110:111], v[30:31], v[20:21], v[12:13]
	v_mul_f64 v[12:13], v[30:31], v[22:23]
	v_add_f64 v[178:179], v[114:115], v[110:111]
	v_fma_f64 v[112:113], v[28:29], v[20:21], -v[12:13]
	s_clause 0x1
	global_load_dwordx4 v[12:15], v120, s[12:13] offset:16
	global_load_dwordx4 v[16:19], v120, s[12:13]
	v_add_f64 v[174:175], v[114:115], -v[110:111]
	v_add_f64 v[140:141], v[116:117], -v[112:113]
	v_add_f64 v[142:143], v[116:117], v[112:113]
	s_waitcnt vmcnt(1)
	v_mul_f64 v[20:21], v[8:9], v[14:15]
	v_fma_f64 v[128:129], v[10:11], v[12:13], v[20:21]
	v_mul_f64 v[10:11], v[10:11], v[14:15]
	v_fma_f64 v[118:119], v[8:9], v[12:13], -v[10:11]
	s_clause 0x1
	global_load_dwordx4 v[8:11], v120, s[12:13] offset:224
	global_load_dwordx4 v[12:15], v120, s[12:13] offset:240
	s_waitcnt vmcnt(1)
	v_mul_f64 v[20:21], v[44:45], v[10:11]
	v_mul_f64 v[10:11], v[46:47], v[10:11]
	v_fma_f64 v[120:121], v[46:47], v[8:9], v[20:21]
	v_fma_f64 v[122:123], v[44:45], v[8:9], -v[10:11]
	v_mul_f64 v[8:9], v[4:5], v[18:19]
	v_mul_f64 v[46:47], v[192:193], s[34:35]
	v_add_f64 v[160:161], v[128:129], v[120:121]
	v_add_f64 v[134:135], v[118:119], -v[122:123]
	v_fma_f64 v[132:133], v[6:7], v[16:17], v[8:9]
	v_mul_f64 v[6:7], v[6:7], v[18:19]
	v_add_f64 v[172:173], v[128:129], -v[120:121]
	v_add_f64 v[138:139], v[118:119], v[122:123]
	v_mul_f64 v[10:11], v[160:161], s[4:5]
	v_fma_f64 v[130:131], v[4:5], v[16:17], -v[6:7]
	s_waitcnt vmcnt(0)
	v_mul_f64 v[4:5], v[36:37], v[14:15]
	v_fma_f64 v[6:7], v[134:135], s[6:7], v[10:11]
	v_fma_f64 v[10:11], v[134:135], s[40:41], v[10:11]
	;; [unrolled: 1-line block ×3, first 2 shown]
	v_mul_f64 v[4:5], v[38:39], v[14:15]
	v_mul_f64 v[14:15], v[172:173], s[40:41]
	;; [unrolled: 1-line block ×4, first 2 shown]
	v_add_f64 v[154:155], v[132:133], v[124:125]
	v_fma_f64 v[126:127], v[36:37], v[12:13], -v[4:5]
	v_add_f64 v[170:171], v[132:133], -v[124:125]
	v_fma_f64 v[16:17], v[138:139], s[4:5], v[14:15]
	v_add_f64 v[132:133], v[2:3], v[132:133]
	v_mul_f64 v[8:9], v[154:155], s[0:1]
	v_add_f64 v[136:137], v[130:131], -v[126:127]
	v_add_f64 v[148:149], v[130:131], v[126:127]
	v_mul_f64 v[12:13], v[170:171], s[8:9]
	v_add_f64 v[130:131], v[0:1], v[130:131]
	v_add_f64 v[128:129], v[132:133], v[128:129]
	v_fma_f64 v[4:5], v[136:137], s[18:19], v[8:9]
	v_fma_f64 v[8:9], v[136:137], s[8:9], v[8:9]
	v_add_f64 v[118:119], v[130:131], v[118:119]
	v_add_f64 v[114:115], v[128:129], v[114:115]
	;; [unrolled: 1-line block ×7, first 2 shown]
	v_fma_f64 v[6:7], v[148:149], s[0:1], v[12:13]
	v_add_f64 v[8:9], v[10:11], v[8:9]
	v_fma_f64 v[10:11], v[148:149], s[0:1], -v[12:13]
	v_fma_f64 v[12:13], v[138:139], s[4:5], -v[14:15]
	;; [unrolled: 1-line block ×3, first 2 shown]
	v_add_f64 v[104:105], v[116:117], v[104:105]
	v_add_f64 v[98:99], v[102:103], v[98:99]
	v_add_f64 v[6:7], v[0:1], v[6:7]
	v_add_f64 v[10:11], v[0:1], v[10:11]
	v_add_f64 v[100:101], v[104:105], v[100:101]
	v_add_f64 v[62:63], v[98:99], v[62:63]
	v_add_f64 v[6:7], v[16:17], v[6:7]
	v_mul_f64 v[16:17], v[178:179], s[14:15]
	v_add_f64 v[10:11], v[12:13], v[10:11]
	v_add_f64 v[78:79], v[100:101], v[78:79]
	v_add_f64 v[62:63], v[62:63], v[74:75]
	v_fma_f64 v[18:19], v[140:141], s[44:45], v[16:17]
	v_fma_f64 v[12:13], v[140:141], s[16:17], v[16:17]
	v_mul_f64 v[16:17], v[154:155], s[14:15]
	v_add_f64 v[74:75], v[78:79], v[76:77]
	v_add_f64 v[62:63], v[62:63], v[68:69]
	;; [unrolled: 1-line block ×3, first 2 shown]
	v_mul_f64 v[18:19], v[174:175], s[16:17]
	v_add_f64 v[8:9], v[12:13], v[8:9]
	v_add_f64 v[64:65], v[74:75], v[64:65]
	;; [unrolled: 1-line block ×3, first 2 shown]
	v_fma_f64 v[20:21], v[142:143], s[14:15], v[18:19]
	v_fma_f64 v[12:13], v[142:143], s[14:15], -v[18:19]
	v_mul_f64 v[18:19], v[160:161], s[28:29]
	v_add_f64 v[64:65], v[64:65], v[70:71]
	v_add_f64 v[62:63], v[62:63], v[72:73]
	;; [unrolled: 1-line block ×3, first 2 shown]
	v_mul_f64 v[20:21], v[182:183], s[20:21]
	v_add_f64 v[10:11], v[12:13], v[10:11]
	v_add_f64 v[60:61], v[64:65], v[60:61]
	;; [unrolled: 1-line block ×3, first 2 shown]
	v_mov_b32_e32 v64, 4
	v_mov_b32_e32 v65, 0x330
	v_lshlrev_b32_sdwa v64, v64, v199 dst_sel:DWORD dst_unused:UNUSED_PAD src0_sel:DWORD src1_sel:BYTE_0
	v_mul_u32_u24_sdwa v65, v83, v65 dst_sel:DWORD dst_unused:UNUSED_PAD src0_sel:WORD_0 src1_sel:DWORD
	v_add3_u32 v64, 0, v65, v64
	v_fma_f64 v[22:23], v[144:145], s[22:23], v[20:21]
	v_fma_f64 v[12:13], v[144:145], s[46:47], v[20:21]
	v_mul_f64 v[20:21], v[170:171], s[16:17]
	v_add_f64 v[60:61], v[60:61], v[92:93]
	v_add_f64 v[62:63], v[62:63], v[94:95]
	;; [unrolled: 1-line block ×3, first 2 shown]
	v_mul_f64 v[22:23], v[176:177], s[46:47]
	v_add_f64 v[8:9], v[12:13], v[8:9]
	v_add_f64 v[60:61], v[60:61], v[96:97]
	;; [unrolled: 1-line block ×3, first 2 shown]
	v_fma_f64 v[24:25], v[146:147], s[20:21], v[22:23]
	v_fma_f64 v[12:13], v[146:147], s[20:21], -v[22:23]
	v_mul_f64 v[22:23], v[172:173], s[50:51]
	v_add_f64 v[60:61], v[60:61], v[108:109]
	v_add_f64 v[62:63], v[62:63], v[110:111]
	;; [unrolled: 1-line block ×3, first 2 shown]
	v_mul_f64 v[24:25], v[186:187], s[24:25]
	v_add_f64 v[10:11], v[12:13], v[10:11]
	v_add_f64 v[60:61], v[60:61], v[112:113]
	;; [unrolled: 1-line block ×3, first 2 shown]
	v_fma_f64 v[26:27], v[150:151], s[48:49], v[24:25]
	v_fma_f64 v[12:13], v[150:151], s[26:27], v[24:25]
	;; [unrolled: 1-line block ×3, first 2 shown]
	v_add_f64 v[60:61], v[60:61], v[122:123]
	v_add_f64 v[62:63], v[62:63], v[124:125]
	;; [unrolled: 1-line block ×3, first 2 shown]
	v_mul_f64 v[26:27], v[180:181], s[26:27]
	v_add_f64 v[8:9], v[12:13], v[8:9]
	v_add_f64 v[60:61], v[60:61], v[126:127]
	v_fma_f64 v[28:29], v[152:153], s[24:25], v[26:27]
	v_fma_f64 v[12:13], v[152:153], s[24:25], -v[26:27]
	v_add_f64 v[6:7], v[28:29], v[6:7]
	v_mul_f64 v[28:29], v[190:191], s[28:29]
	v_add_f64 v[10:11], v[12:13], v[10:11]
	v_fma_f64 v[30:31], v[156:157], s[30:31], v[28:29]
	v_fma_f64 v[12:13], v[156:157], s[50:51], v[28:29]
	v_add_f64 v[4:5], v[30:31], v[4:5]
	v_mul_f64 v[30:31], v[184:185], s[50:51]
	v_add_f64 v[8:9], v[12:13], v[8:9]
	v_fma_f64 v[32:33], v[158:159], s[28:29], v[30:31]
	v_fma_f64 v[12:13], v[158:159], s[28:29], -v[30:31]
	v_add_f64 v[6:7], v[32:33], v[6:7]
	v_mul_f64 v[32:33], v[196:197], s[34:35]
	v_add_f64 v[10:11], v[12:13], v[10:11]
	v_fma_f64 v[34:35], v[162:163], s[52:53], v[32:33]
	v_fma_f64 v[12:13], v[162:163], s[36:37], v[32:33]
	v_add_f64 v[4:5], v[34:35], v[4:5]
	v_mul_f64 v[34:35], v[188:189], s[36:37]
	v_add_f64 v[8:9], v[12:13], v[8:9]
	v_fma_f64 v[12:13], v[164:165], s[34:35], -v[34:35]
	v_fma_f64 v[36:37], v[164:165], s[34:35], v[34:35]
	v_add_f64 v[12:13], v[12:13], v[10:11]
	v_fma_f64 v[10:11], v[166:167], s[54:55], v[38:39]
	v_add_f64 v[36:37], v[36:37], v[6:7]
	;; [unrolled: 2-line block ×3, first 2 shown]
	v_add_f64 v[8:9], v[14:15], v[12:13]
	v_fma_f64 v[12:13], v[136:137], s[44:45], v[16:17]
	v_fma_f64 v[14:15], v[134:135], s[30:31], v[18:19]
	;; [unrolled: 1-line block ×4, first 2 shown]
	v_add_f64 v[6:7], v[6:7], v[4:5]
	v_fma_f64 v[4:5], v[168:169], s[38:39], v[40:41]
	v_add_f64 v[12:13], v[2:3], v[12:13]
	v_add_f64 v[16:17], v[2:3], v[16:17]
	;; [unrolled: 1-line block ×4, first 2 shown]
	v_fma_f64 v[14:15], v[148:149], s[14:15], v[20:21]
	v_add_f64 v[16:17], v[18:19], v[16:17]
	v_fma_f64 v[18:19], v[148:149], s[14:15], -v[20:21]
	v_fma_f64 v[20:21], v[138:139], s[28:29], -v[22:23]
	;; [unrolled: 1-line block ×3, first 2 shown]
	v_add_f64 v[14:15], v[0:1], v[14:15]
	v_add_f64 v[18:19], v[0:1], v[18:19]
	;; [unrolled: 1-line block ×3, first 2 shown]
	v_mul_f64 v[24:25], v[178:179], s[38:39]
	v_add_f64 v[18:19], v[20:21], v[18:19]
	v_fma_f64 v[26:27], v[140:141], s[54:55], v[24:25]
	v_fma_f64 v[20:21], v[140:141], s[42:43], v[24:25]
	v_mul_f64 v[24:25], v[154:155], s[24:25]
	v_add_f64 v[12:13], v[26:27], v[12:13]
	v_mul_f64 v[26:27], v[174:175], s[42:43]
	v_add_f64 v[16:17], v[20:21], v[16:17]
	v_fma_f64 v[28:29], v[142:143], s[38:39], v[26:27]
	v_fma_f64 v[20:21], v[142:143], s[38:39], -v[26:27]
	v_mul_f64 v[26:27], v[160:161], s[34:35]
	v_add_f64 v[14:15], v[28:29], v[14:15]
	v_mul_f64 v[28:29], v[182:183], s[24:25]
	v_add_f64 v[18:19], v[20:21], v[18:19]
	v_fma_f64 v[30:31], v[144:145], s[26:27], v[28:29]
	v_fma_f64 v[20:21], v[144:145], s[48:49], v[28:29]
	v_mul_f64 v[28:29], v[170:171], s[26:27]
	v_add_f64 v[12:13], v[30:31], v[12:13]
	v_mul_f64 v[30:31], v[176:177], s[48:49]
	v_add_f64 v[16:17], v[20:21], v[16:17]
	v_fma_f64 v[32:33], v[146:147], s[24:25], v[30:31]
	v_fma_f64 v[20:21], v[146:147], s[24:25], -v[30:31]
	v_mul_f64 v[30:31], v[172:173], s[52:53]
	v_add_f64 v[14:15], v[32:33], v[14:15]
	v_mul_f64 v[32:33], v[186:187], s[4:5]
	v_add_f64 v[18:19], v[20:21], v[18:19]
	v_fma_f64 v[34:35], v[150:151], s[40:41], v[32:33]
	v_fma_f64 v[20:21], v[150:151], s[6:7], v[32:33]
	;; [unrolled: 1-line block ×3, first 2 shown]
	v_add_f64 v[12:13], v[34:35], v[12:13]
	v_mul_f64 v[34:35], v[180:181], s[6:7]
	v_add_f64 v[16:17], v[20:21], v[16:17]
	v_fma_f64 v[36:37], v[152:153], s[4:5], v[34:35]
	v_fma_f64 v[20:21], v[152:153], s[4:5], -v[34:35]
	v_add_f64 v[14:15], v[36:37], v[14:15]
	v_mul_f64 v[36:37], v[190:191], s[0:1]
	v_add_f64 v[18:19], v[20:21], v[18:19]
	v_fma_f64 v[38:39], v[156:157], s[18:19], v[36:37]
	v_fma_f64 v[20:21], v[156:157], s[8:9], v[36:37]
	v_add_f64 v[12:13], v[38:39], v[12:13]
	v_mul_f64 v[38:39], v[184:185], s[8:9]
	v_add_f64 v[16:17], v[20:21], v[16:17]
	v_fma_f64 v[40:41], v[158:159], s[0:1], v[38:39]
	v_fma_f64 v[20:21], v[158:159], s[0:1], -v[38:39]
	v_add_f64 v[14:15], v[40:41], v[14:15]
	v_mul_f64 v[40:41], v[196:197], s[20:21]
	v_add_f64 v[18:19], v[20:21], v[18:19]
	v_fma_f64 v[42:43], v[162:163], s[22:23], v[40:41]
	v_fma_f64 v[20:21], v[162:163], s[46:47], v[40:41]
	v_add_f64 v[12:13], v[42:43], v[12:13]
	v_mul_f64 v[42:43], v[188:189], s[46:47]
	v_add_f64 v[16:17], v[20:21], v[16:17]
	v_fma_f64 v[20:21], v[164:165], s[20:21], -v[42:43]
	v_fma_f64 v[44:45], v[164:165], s[20:21], v[42:43]
	v_add_f64 v[20:21], v[20:21], v[18:19]
	v_fma_f64 v[18:19], v[166:167], s[36:37], v[46:47]
	v_add_f64 v[44:45], v[44:45], v[14:15]
	;; [unrolled: 2-line block ×3, first 2 shown]
	v_add_f64 v[16:17], v[22:23], v[20:21]
	v_fma_f64 v[20:21], v[136:137], s[48:49], v[24:25]
	v_fma_f64 v[22:23], v[134:135], s[36:37], v[26:27]
	;; [unrolled: 1-line block ×4, first 2 shown]
	v_add_f64 v[14:15], v[14:15], v[12:13]
	v_fma_f64 v[12:13], v[168:169], s[34:35], v[48:49]
	v_add_f64 v[20:21], v[2:3], v[20:21]
	v_add_f64 v[24:25], v[2:3], v[24:25]
	;; [unrolled: 1-line block ×4, first 2 shown]
	v_fma_f64 v[22:23], v[148:149], s[24:25], v[28:29]
	v_add_f64 v[24:25], v[26:27], v[24:25]
	v_fma_f64 v[26:27], v[148:149], s[24:25], -v[28:29]
	v_fma_f64 v[28:29], v[138:139], s[34:35], -v[30:31]
	;; [unrolled: 1-line block ×3, first 2 shown]
	v_add_f64 v[22:23], v[0:1], v[22:23]
	v_add_f64 v[26:27], v[0:1], v[26:27]
	;; [unrolled: 1-line block ×3, first 2 shown]
	v_mul_f64 v[32:33], v[178:179], s[4:5]
	v_add_f64 v[26:27], v[28:29], v[26:27]
	v_fma_f64 v[34:35], v[140:141], s[40:41], v[32:33]
	v_fma_f64 v[28:29], v[140:141], s[6:7], v[32:33]
	v_mul_f64 v[32:33], v[154:155], s[34:35]
	v_add_f64 v[20:21], v[34:35], v[20:21]
	v_mul_f64 v[34:35], v[174:175], s[6:7]
	v_add_f64 v[24:25], v[28:29], v[24:25]
	v_fma_f64 v[36:37], v[142:143], s[4:5], v[34:35]
	v_fma_f64 v[28:29], v[142:143], s[4:5], -v[34:35]
	v_mul_f64 v[34:35], v[160:161], s[14:15]
	v_add_f64 v[22:23], v[36:37], v[22:23]
	v_mul_f64 v[36:37], v[182:183], s[14:15]
	v_add_f64 v[26:27], v[28:29], v[26:27]
	v_fma_f64 v[38:39], v[144:145], s[44:45], v[36:37]
	v_fma_f64 v[28:29], v[144:145], s[16:17], v[36:37]
	v_mul_f64 v[36:37], v[170:171], s[36:37]
	v_add_f64 v[20:21], v[38:39], v[20:21]
	v_mul_f64 v[38:39], v[176:177], s[16:17]
	v_add_f64 v[24:25], v[28:29], v[24:25]
	v_fma_f64 v[40:41], v[146:147], s[14:15], v[38:39]
	v_fma_f64 v[28:29], v[146:147], s[14:15], -v[38:39]
	v_mul_f64 v[38:39], v[172:173], s[44:45]
	v_add_f64 v[22:23], v[40:41], v[22:23]
	v_mul_f64 v[40:41], v[186:187], s[38:39]
	v_add_f64 v[26:27], v[28:29], v[26:27]
	v_fma_f64 v[42:43], v[150:151], s[42:43], v[40:41]
	v_fma_f64 v[28:29], v[150:151], s[54:55], v[40:41]
	;; [unrolled: 1-line block ×3, first 2 shown]
	v_add_f64 v[20:21], v[42:43], v[20:21]
	v_mul_f64 v[42:43], v[180:181], s[54:55]
	v_add_f64 v[24:25], v[28:29], v[24:25]
	v_fma_f64 v[44:45], v[152:153], s[38:39], v[42:43]
	v_fma_f64 v[28:29], v[152:153], s[38:39], -v[42:43]
	v_add_f64 v[22:23], v[44:45], v[22:23]
	v_mul_f64 v[44:45], v[190:191], s[20:21]
	v_add_f64 v[26:27], v[28:29], v[26:27]
	v_fma_f64 v[46:47], v[156:157], s[46:47], v[44:45]
	v_fma_f64 v[28:29], v[156:157], s[22:23], v[44:45]
	v_add_f64 v[20:21], v[46:47], v[20:21]
	v_mul_f64 v[46:47], v[184:185], s[22:23]
	v_add_f64 v[24:25], v[28:29], v[24:25]
	v_fma_f64 v[48:49], v[158:159], s[20:21], v[46:47]
	v_fma_f64 v[28:29], v[158:159], s[20:21], -v[46:47]
	v_add_f64 v[22:23], v[48:49], v[22:23]
	v_mul_f64 v[48:49], v[196:197], s[0:1]
	v_add_f64 v[26:27], v[28:29], v[26:27]
	v_fma_f64 v[50:51], v[162:163], s[18:19], v[48:49]
	v_fma_f64 v[28:29], v[162:163], s[8:9], v[48:49]
	v_add_f64 v[20:21], v[50:51], v[20:21]
	v_mul_f64 v[50:51], v[188:189], s[8:9]
	v_add_f64 v[24:25], v[28:29], v[24:25]
	v_fma_f64 v[28:29], v[164:165], s[0:1], -v[50:51]
	v_fma_f64 v[52:53], v[164:165], s[0:1], v[50:51]
	v_add_f64 v[28:29], v[28:29], v[26:27]
	v_fma_f64 v[26:27], v[166:167], s[50:51], v[54:55]
	v_add_f64 v[52:53], v[52:53], v[22:23]
	;; [unrolled: 2-line block ×3, first 2 shown]
	v_add_f64 v[24:25], v[30:31], v[28:29]
	v_fma_f64 v[28:29], v[136:137], s[52:53], v[32:33]
	v_fma_f64 v[30:31], v[134:135], s[16:17], v[34:35]
	;; [unrolled: 1-line block ×4, first 2 shown]
	v_add_f64 v[22:23], v[22:23], v[20:21]
	v_fma_f64 v[20:21], v[168:169], s[28:29], v[56:57]
	v_add_f64 v[28:29], v[2:3], v[28:29]
	v_add_f64 v[32:33], v[2:3], v[32:33]
	;; [unrolled: 1-line block ×4, first 2 shown]
	v_fma_f64 v[30:31], v[148:149], s[34:35], v[36:37]
	v_add_f64 v[32:33], v[34:35], v[32:33]
	v_fma_f64 v[34:35], v[148:149], s[34:35], -v[36:37]
	v_fma_f64 v[36:37], v[138:139], s[14:15], -v[38:39]
	;; [unrolled: 1-line block ×3, first 2 shown]
	v_add_f64 v[30:31], v[0:1], v[30:31]
	v_add_f64 v[34:35], v[0:1], v[34:35]
	;; [unrolled: 1-line block ×3, first 2 shown]
	v_mul_f64 v[40:41], v[178:179], s[20:21]
	v_add_f64 v[34:35], v[36:37], v[34:35]
	v_fma_f64 v[42:43], v[140:141], s[22:23], v[40:41]
	v_fma_f64 v[36:37], v[140:141], s[46:47], v[40:41]
	v_mul_f64 v[40:41], v[154:155], s[38:39]
	v_add_f64 v[28:29], v[42:43], v[28:29]
	v_mul_f64 v[42:43], v[174:175], s[46:47]
	v_add_f64 v[32:33], v[36:37], v[32:33]
	v_fma_f64 v[44:45], v[142:143], s[20:21], v[42:43]
	v_fma_f64 v[36:37], v[142:143], s[20:21], -v[42:43]
	v_mul_f64 v[42:43], v[160:161], s[0:1]
	v_add_f64 v[30:31], v[44:45], v[30:31]
	v_mul_f64 v[44:45], v[182:183], s[28:29]
	v_add_f64 v[34:35], v[36:37], v[34:35]
	v_fma_f64 v[46:47], v[144:145], s[50:51], v[44:45]
	v_fma_f64 v[36:37], v[144:145], s[30:31], v[44:45]
	v_mul_f64 v[44:45], v[170:171], s[42:43]
	v_add_f64 v[28:29], v[46:47], v[28:29]
	v_mul_f64 v[46:47], v[176:177], s[30:31]
	v_add_f64 v[32:33], v[36:37], v[32:33]
	v_fma_f64 v[48:49], v[146:147], s[28:29], v[46:47]
	v_fma_f64 v[36:37], v[146:147], s[28:29], -v[46:47]
	v_mul_f64 v[46:47], v[172:173], s[8:9]
	v_add_f64 v[30:31], v[48:49], v[30:31]
	v_mul_f64 v[48:49], v[186:187], s[0:1]
	v_add_f64 v[34:35], v[36:37], v[34:35]
	v_fma_f64 v[50:51], v[150:151], s[18:19], v[48:49]
	v_fma_f64 v[36:37], v[150:151], s[8:9], v[48:49]
	;; [unrolled: 1-line block ×3, first 2 shown]
	v_add_f64 v[28:29], v[50:51], v[28:29]
	v_mul_f64 v[50:51], v[180:181], s[8:9]
	v_add_f64 v[32:33], v[36:37], v[32:33]
	v_fma_f64 v[52:53], v[152:153], s[0:1], v[50:51]
	v_fma_f64 v[36:37], v[152:153], s[0:1], -v[50:51]
	v_add_f64 v[30:31], v[52:53], v[30:31]
	v_mul_f64 v[52:53], v[190:191], s[38:39]
	v_add_f64 v[34:35], v[36:37], v[34:35]
	v_fma_f64 v[54:55], v[156:157], s[42:43], v[52:53]
	v_fma_f64 v[36:37], v[156:157], s[54:55], v[52:53]
	v_add_f64 v[28:29], v[54:55], v[28:29]
	v_mul_f64 v[54:55], v[184:185], s[54:55]
	v_add_f64 v[32:33], v[36:37], v[32:33]
	v_fma_f64 v[56:57], v[158:159], s[38:39], v[54:55]
	v_fma_f64 v[36:37], v[158:159], s[38:39], -v[54:55]
	v_add_f64 v[30:31], v[56:57], v[30:31]
	v_mul_f64 v[56:57], v[196:197], s[4:5]
	v_add_f64 v[34:35], v[36:37], v[34:35]
	v_fma_f64 v[58:59], v[162:163], s[40:41], v[56:57]
	v_fma_f64 v[36:37], v[162:163], s[6:7], v[56:57]
	v_add_f64 v[28:29], v[58:59], v[28:29]
	v_mul_f64 v[58:59], v[188:189], s[6:7]
	v_add_f64 v[32:33], v[36:37], v[32:33]
	v_fma_f64 v[36:37], v[164:165], s[4:5], -v[58:59]
	v_fma_f64 v[200:201], v[164:165], s[4:5], v[58:59]
	v_add_f64 v[36:37], v[36:37], v[34:35]
	v_fma_f64 v[34:35], v[166:167], s[26:27], v[202:203]
	v_add_f64 v[200:201], v[200:201], v[30:31]
	;; [unrolled: 2-line block ×3, first 2 shown]
	v_add_f64 v[32:33], v[38:39], v[36:37]
	v_fma_f64 v[36:37], v[136:137], s[54:55], v[40:41]
	v_fma_f64 v[38:39], v[134:135], s[18:19], v[42:43]
	v_fma_f64 v[40:41], v[136:137], s[42:43], v[40:41]
	v_fma_f64 v[42:43], v[134:135], s[8:9], v[42:43]
	v_add_f64 v[30:31], v[30:31], v[28:29]
	v_fma_f64 v[28:29], v[168:169], s[24:25], v[204:205]
	v_add_f64 v[36:37], v[2:3], v[36:37]
	v_add_f64 v[40:41], v[2:3], v[40:41]
	;; [unrolled: 1-line block ×4, first 2 shown]
	v_fma_f64 v[38:39], v[148:149], s[38:39], v[44:45]
	v_add_f64 v[40:41], v[42:43], v[40:41]
	v_fma_f64 v[42:43], v[148:149], s[38:39], -v[44:45]
	v_fma_f64 v[44:45], v[138:139], s[0:1], -v[46:47]
	;; [unrolled: 1-line block ×3, first 2 shown]
	v_add_f64 v[38:39], v[0:1], v[38:39]
	v_add_f64 v[42:43], v[0:1], v[42:43]
	;; [unrolled: 1-line block ×3, first 2 shown]
	v_mul_f64 v[48:49], v[178:179], s[34:35]
	v_add_f64 v[42:43], v[44:45], v[42:43]
	v_fma_f64 v[50:51], v[140:141], s[36:37], v[48:49]
	v_fma_f64 v[44:45], v[140:141], s[52:53], v[48:49]
	v_mul_f64 v[48:49], v[154:155], s[28:29]
	v_add_f64 v[36:37], v[50:51], v[36:37]
	v_mul_f64 v[50:51], v[174:175], s[52:53]
	v_add_f64 v[40:41], v[44:45], v[40:41]
	v_fma_f64 v[52:53], v[142:143], s[34:35], v[50:51]
	v_fma_f64 v[44:45], v[142:143], s[34:35], -v[50:51]
	v_mul_f64 v[50:51], v[160:161], s[24:25]
	v_add_f64 v[38:39], v[52:53], v[38:39]
	v_mul_f64 v[52:53], v[182:183], s[4:5]
	v_add_f64 v[42:43], v[44:45], v[42:43]
	v_fma_f64 v[54:55], v[144:145], s[6:7], v[52:53]
	v_fma_f64 v[44:45], v[144:145], s[40:41], v[52:53]
	v_mul_f64 v[52:53], v[170:171], s[30:31]
	v_add_f64 v[36:37], v[54:55], v[36:37]
	v_mul_f64 v[54:55], v[176:177], s[40:41]
	v_add_f64 v[40:41], v[44:45], v[40:41]
	v_fma_f64 v[56:57], v[146:147], s[4:5], v[54:55]
	v_fma_f64 v[44:45], v[146:147], s[4:5], -v[54:55]
	v_mul_f64 v[54:55], v[172:173], s[26:27]
	v_add_f64 v[38:39], v[56:57], v[38:39]
	v_mul_f64 v[56:57], v[186:187], s[28:29]
	v_add_f64 v[42:43], v[44:45], v[42:43]
	v_fma_f64 v[58:59], v[150:151], s[50:51], v[56:57]
	v_fma_f64 v[44:45], v[150:151], s[30:31], v[56:57]
	;; [unrolled: 1-line block ×3, first 2 shown]
	v_add_f64 v[36:37], v[58:59], v[36:37]
	v_mul_f64 v[58:59], v[180:181], s[30:31]
	v_add_f64 v[40:41], v[44:45], v[40:41]
	v_fma_f64 v[200:201], v[152:153], s[28:29], v[58:59]
	v_fma_f64 v[44:45], v[152:153], s[28:29], -v[58:59]
	v_add_f64 v[38:39], v[200:201], v[38:39]
	v_mul_f64 v[200:201], v[190:191], s[14:15]
	v_add_f64 v[42:43], v[44:45], v[42:43]
	v_fma_f64 v[202:203], v[156:157], s[44:45], v[200:201]
	v_fma_f64 v[44:45], v[156:157], s[16:17], v[200:201]
	v_add_f64 v[36:37], v[202:203], v[36:37]
	v_mul_f64 v[202:203], v[184:185], s[16:17]
	v_add_f64 v[40:41], v[44:45], v[40:41]
	v_fma_f64 v[204:205], v[158:159], s[14:15], v[202:203]
	v_fma_f64 v[44:45], v[158:159], s[14:15], -v[202:203]
	v_add_f64 v[38:39], v[204:205], v[38:39]
	v_mul_f64 v[204:205], v[196:197], s[24:25]
	v_add_f64 v[42:43], v[44:45], v[42:43]
	v_fma_f64 v[206:207], v[162:163], s[26:27], v[204:205]
	v_fma_f64 v[44:45], v[162:163], s[48:49], v[204:205]
	v_add_f64 v[36:37], v[206:207], v[36:37]
	v_mul_f64 v[206:207], v[188:189], s[48:49]
	v_add_f64 v[40:41], v[44:45], v[40:41]
	v_fma_f64 v[44:45], v[164:165], s[24:25], -v[206:207]
	v_fma_f64 v[208:209], v[164:165], s[24:25], v[206:207]
	v_add_f64 v[44:45], v[44:45], v[42:43]
	v_fma_f64 v[42:43], v[166:167], s[46:47], v[210:211]
	v_add_f64 v[208:209], v[208:209], v[38:39]
	;; [unrolled: 2-line block ×3, first 2 shown]
	v_add_f64 v[40:41], v[46:47], v[44:45]
	v_fma_f64 v[44:45], v[136:137], s[50:51], v[48:49]
	v_fma_f64 v[46:47], v[134:135], s[48:49], v[50:51]
	v_add_f64 v[38:39], v[38:39], v[36:37]
	v_fma_f64 v[36:37], v[168:169], s[20:21], v[212:213]
	v_fma_f64 v[48:49], v[136:137], s[30:31], v[48:49]
	;; [unrolled: 1-line block ×3, first 2 shown]
	v_add_f64 v[44:45], v[2:3], v[44:45]
	v_add_f64 v[36:37], v[36:37], v[208:209]
	;; [unrolled: 1-line block ×4, first 2 shown]
	v_fma_f64 v[46:47], v[148:149], s[28:29], v[52:53]
	v_add_f64 v[48:49], v[50:51], v[48:49]
	v_add_f64 v[46:47], v[0:1], v[46:47]
	;; [unrolled: 1-line block ×3, first 2 shown]
	v_mul_f64 v[56:57], v[178:179], s[0:1]
	v_fma_f64 v[58:59], v[140:141], s[8:9], v[56:57]
	v_fma_f64 v[50:51], v[140:141], s[18:19], v[56:57]
	v_mul_f64 v[56:57], v[154:155], s[20:21]
	v_mul_f64 v[154:155], v[154:155], s[4:5]
	v_add_f64 v[44:45], v[58:59], v[44:45]
	v_mul_f64 v[58:59], v[174:175], s[18:19]
	v_add_f64 v[48:49], v[50:51], v[48:49]
	v_fma_f64 v[200:201], v[142:143], s[0:1], v[58:59]
	v_add_f64 v[46:47], v[200:201], v[46:47]
	v_mul_f64 v[200:201], v[182:183], s[34:35]
	v_fma_f64 v[202:203], v[144:145], s[36:37], v[200:201]
	v_fma_f64 v[50:51], v[144:145], s[52:53], v[200:201]
	v_mul_f64 v[200:201], v[178:179], s[24:25]
	v_mul_f64 v[178:179], v[178:179], s[28:29]
	v_add_f64 v[44:45], v[202:203], v[44:45]
	v_mul_f64 v[202:203], v[176:177], s[52:53]
	v_add_f64 v[48:49], v[50:51], v[48:49]
	v_fma_f64 v[204:205], v[146:147], s[34:35], v[202:203]
	v_add_f64 v[46:47], v[204:205], v[46:47]
	;; [unrolled: 10-line block ×3, first 2 shown]
	v_mul_f64 v[208:209], v[190:191], s[4:5]
	v_fma_f64 v[210:211], v[156:157], s[40:41], v[208:209]
	v_fma_f64 v[50:51], v[156:157], s[6:7], v[208:209]
	v_mul_f64 v[208:209], v[196:197], s[28:29]
	v_add_f64 v[44:45], v[210:211], v[44:45]
	v_mul_f64 v[210:211], v[184:185], s[6:7]
	v_add_f64 v[48:49], v[50:51], v[48:49]
	v_fma_f64 v[212:213], v[158:159], s[4:5], v[210:211]
	v_add_f64 v[46:47], v[212:213], v[46:47]
	v_mul_f64 v[212:213], v[196:197], s[38:39]
	v_mul_f64 v[196:197], v[196:197], s[14:15]
	v_fma_f64 v[50:51], v[162:163], s[42:43], v[212:213]
	v_fma_f64 v[214:215], v[162:163], s[54:55], v[212:213]
	v_mul_f64 v[212:213], v[172:173], s[42:43]
	v_add_f64 v[48:49], v[50:51], v[48:49]
	v_fma_f64 v[50:51], v[148:149], s[28:29], -v[52:53]
	v_fma_f64 v[52:53], v[138:139], s[24:25], -v[54:55]
	v_add_f64 v[44:45], v[214:215], v[44:45]
	v_mul_f64 v[214:215], v[188:189], s[42:43]
	v_fma_f64 v[54:55], v[168:169], s[14:15], -v[220:221]
	v_add_f64 v[50:51], v[0:1], v[50:51]
	v_fma_f64 v[216:217], v[164:165], s[38:39], v[214:215]
	v_add_f64 v[50:51], v[52:53], v[50:51]
	v_fma_f64 v[52:53], v[142:143], s[0:1], -v[58:59]
	v_mul_f64 v[58:59], v[160:161], s[38:39]
	v_add_f64 v[216:217], v[216:217], v[46:47]
	v_fma_f64 v[46:47], v[166:167], s[44:45], v[218:219]
	v_mul_f64 v[160:161], v[160:161], s[20:21]
	v_add_f64 v[50:51], v[52:53], v[50:51]
	v_fma_f64 v[52:53], v[146:147], s[34:35], -v[202:203]
	v_mul_f64 v[202:203], v[182:183], s[0:1]
	v_add_f64 v[46:47], v[46:47], v[44:45]
	v_fma_f64 v[44:45], v[168:169], s[14:15], v[220:221]
	v_mul_f64 v[182:183], v[182:183], s[38:39]
	v_add_f64 v[50:51], v[52:53], v[50:51]
	v_fma_f64 v[52:53], v[152:153], s[20:21], -v[206:207]
	v_mul_f64 v[206:207], v[190:191], s[34:35]
	v_add_f64 v[44:45], v[44:45], v[216:217]
	v_mul_f64 v[190:191], v[190:191], s[24:25]
	v_add_f64 v[50:51], v[52:53], v[50:51]
	v_fma_f64 v[52:53], v[158:159], s[4:5], -v[210:211]
	v_mul_f64 v[210:211], v[170:171], s[22:23]
	v_add_f64 v[50:51], v[52:53], v[50:51]
	v_fma_f64 v[52:53], v[164:165], s[38:39], -v[214:215]
	v_fma_f64 v[214:215], v[138:139], s[38:39], v[212:213]
	v_add_f64 v[52:53], v[52:53], v[50:51]
	v_fma_f64 v[50:51], v[166:167], s[16:17], v[218:219]
	v_add_f64 v[50:51], v[50:51], v[48:49]
	v_add_f64 v[48:49], v[54:55], v[52:53]
	v_fma_f64 v[52:53], v[136:137], s[46:47], v[56:57]
	v_fma_f64 v[54:55], v[134:135], s[54:55], v[58:59]
	;; [unrolled: 1-line block ×4, first 2 shown]
	v_add_f64 v[52:53], v[2:3], v[52:53]
	v_add_f64 v[56:57], v[2:3], v[56:57]
	;; [unrolled: 1-line block ×3, first 2 shown]
	v_fma_f64 v[54:55], v[140:141], s[48:49], v[200:201]
	v_add_f64 v[56:57], v[58:59], v[56:57]
	v_fma_f64 v[58:59], v[140:141], s[26:27], v[200:201]
	v_fma_f64 v[200:201], v[138:139], s[38:39], -v[212:213]
	v_add_f64 v[52:53], v[54:55], v[52:53]
	v_fma_f64 v[54:55], v[144:145], s[18:19], v[202:203]
	v_add_f64 v[56:57], v[58:59], v[56:57]
	v_fma_f64 v[58:59], v[144:145], s[8:9], v[202:203]
	v_fma_f64 v[202:203], v[168:169], s[4:5], -v[228:229]
	v_add_f64 v[52:53], v[54:55], v[52:53]
	v_fma_f64 v[54:55], v[150:151], s[16:17], v[204:205]
	v_add_f64 v[56:57], v[58:59], v[56:57]
	v_fma_f64 v[58:59], v[150:151], s[44:45], v[204:205]
	v_mul_f64 v[204:205], v[172:173], s[22:23]
	v_add_f64 v[52:53], v[54:55], v[52:53]
	v_fma_f64 v[54:55], v[156:157], s[36:37], v[206:207]
	v_add_f64 v[56:57], v[58:59], v[56:57]
	v_fma_f64 v[58:59], v[156:157], s[52:53], v[206:207]
	v_fma_f64 v[172:173], v[138:139], s[20:21], v[204:205]
	v_add_f64 v[52:53], v[54:55], v[52:53]
	v_fma_f64 v[54:55], v[162:163], s[30:31], v[208:209]
	v_add_f64 v[56:57], v[58:59], v[56:57]
	;; [unrolled: 2-line block ×4, first 2 shown]
	v_fma_f64 v[58:59], v[148:149], s[20:21], -v[210:211]
	v_add_f64 v[54:55], v[0:1], v[54:55]
	v_add_f64 v[58:59], v[0:1], v[58:59]
	;; [unrolled: 1-line block ×3, first 2 shown]
	v_mul_f64 v[214:215], v[174:175], s[26:27]
	v_add_f64 v[58:59], v[200:201], v[58:59]
	v_mul_f64 v[174:175], v[174:175], s[30:31]
	v_fma_f64 v[216:217], v[142:143], s[24:25], v[214:215]
	v_fma_f64 v[200:201], v[142:143], s[24:25], -v[214:215]
	v_add_f64 v[54:55], v[216:217], v[54:55]
	v_mul_f64 v[216:217], v[176:177], s[8:9]
	v_add_f64 v[58:59], v[200:201], v[58:59]
	v_mul_f64 v[176:177], v[176:177], s[42:43]
	v_fma_f64 v[218:219], v[146:147], s[0:1], v[216:217]
	v_fma_f64 v[200:201], v[146:147], s[0:1], -v[216:217]
	v_add_f64 v[54:55], v[218:219], v[54:55]
	;; [unrolled: 6-line block ×4, first 2 shown]
	v_mul_f64 v[222:223], v[188:189], s[50:51]
	v_add_f64 v[58:59], v[200:201], v[58:59]
	v_mul_f64 v[188:189], v[188:189], s[16:17]
	v_fma_f64 v[200:201], v[164:165], s[28:29], -v[222:223]
	v_fma_f64 v[224:225], v[164:165], s[28:29], v[222:223]
	v_add_f64 v[200:201], v[200:201], v[58:59]
	v_fma_f64 v[58:59], v[166:167], s[40:41], v[226:227]
	v_add_f64 v[224:225], v[224:225], v[54:55]
	v_fma_f64 v[54:55], v[166:167], s[6:7], v[226:227]
	v_add_f64 v[58:59], v[58:59], v[56:57]
	v_add_f64 v[56:57], v[202:203], v[200:201]
	v_fma_f64 v[200:201], v[136:137], s[40:41], v[154:155]
	v_fma_f64 v[202:203], v[134:135], s[46:47], v[160:161]
	;; [unrolled: 1-line block ×3, first 2 shown]
	v_add_f64 v[54:55], v[54:55], v[52:53]
	v_fma_f64 v[52:53], v[168:169], s[4:5], v[228:229]
	v_add_f64 v[200:201], v[2:3], v[200:201]
	v_add_f64 v[136:137], v[2:3], v[136:137]
	v_fma_f64 v[2:3], v[138:139], s[20:21], -v[204:205]
	v_fma_f64 v[138:139], v[144:145], s[42:43], v[182:183]
	v_add_f64 v[52:53], v[52:53], v[224:225]
	v_add_f64 v[200:201], v[202:203], v[200:201]
	v_fma_f64 v[202:203], v[140:141], s[50:51], v[178:179]
	v_add_f64 v[200:201], v[202:203], v[200:201]
	v_fma_f64 v[202:203], v[144:145], s[54:55], v[182:183]
	v_add_f64 v[200:201], v[202:203], v[200:201]
	v_fma_f64 v[202:203], v[150:151], s[52:53], v[186:187]
	v_add_f64 v[200:201], v[202:203], v[200:201]
	v_fma_f64 v[202:203], v[156:157], s[48:49], v[190:191]
	v_add_f64 v[200:201], v[202:203], v[200:201]
	v_fma_f64 v[202:203], v[162:163], s[44:45], v[196:197]
	v_add_f64 v[200:201], v[202:203], v[200:201]
	v_mul_f64 v[202:203], v[170:171], s[6:7]
	v_fma_f64 v[170:171], v[148:149], s[4:5], v[202:203]
	v_fma_f64 v[148:149], v[148:149], s[4:5], -v[202:203]
	v_add_f64 v[170:171], v[0:1], v[170:171]
	v_add_f64 v[148:149], v[0:1], v[148:149]
	v_fma_f64 v[0:1], v[134:135], s[22:23], v[160:161]
	v_fma_f64 v[134:135], v[140:141], s[30:31], v[178:179]
	v_add_f64 v[170:171], v[172:173], v[170:171]
	v_fma_f64 v[172:173], v[142:143], s[28:29], v[174:175]
	v_add_f64 v[0:1], v[0:1], v[136:137]
	v_fma_f64 v[136:137], v[142:143], s[28:29], -v[174:175]
	v_add_f64 v[2:3], v[2:3], v[148:149]
	v_add_f64 v[170:171], v[172:173], v[170:171]
	v_fma_f64 v[172:173], v[146:147], s[38:39], v[176:177]
	v_add_f64 v[0:1], v[134:135], v[0:1]
	v_fma_f64 v[134:135], v[146:147], s[38:39], -v[176:177]
	v_add_f64 v[2:3], v[136:137], v[2:3]
	v_fma_f64 v[136:137], v[150:151], s[36:37], v[186:187]
	v_add_f64 v[170:171], v[172:173], v[170:171]
	v_fma_f64 v[172:173], v[152:153], s[34:35], v[180:181]
	v_add_f64 v[0:1], v[138:139], v[0:1]
	v_fma_f64 v[138:139], v[152:153], s[34:35], -v[180:181]
	v_add_f64 v[2:3], v[134:135], v[2:3]
	v_fma_f64 v[134:135], v[156:157], s[26:27], v[190:191]
	;; [unrolled: 6-line block ×4, first 2 shown]
	v_add_f64 v[170:171], v[172:173], v[170:171]
	v_fma_f64 v[172:173], v[166:167], s[18:19], v[192:193]
	v_add_f64 v[0:1], v[138:139], v[0:1]
	v_fma_f64 v[138:139], v[168:169], s[0:1], -v[194:195]
	v_add_f64 v[134:135], v[134:135], v[2:3]
	v_add_f64 v[172:173], v[172:173], v[200:201]
	v_fma_f64 v[200:201], v[168:169], s[0:1], v[194:195]
	v_add_f64 v[2:3], v[136:137], v[0:1]
	v_add_f64 v[0:1], v[138:139], v[134:135]
	;; [unrolled: 1-line block ×3, first 2 shown]
	ds_write_b128 v64, v[60:63]
	ds_write_b128 v64, v[0:3] offset:48
	ds_write_b128 v64, v[56:59] offset:96
	;; [unrolled: 1-line block ×16, first 2 shown]
.LBB0_25:
	s_or_b32 exec_lo, exec_lo, s33
	v_mul_u32_u24_e32 v0, 6, v82
	s_waitcnt lgkmcnt(0)
	s_barrier
	buffer_gl0_inv
	v_add_co_u32 v83, s0, s12, v86
	v_lshlrev_b32_e32 v0, 4, v0
	v_add_co_ci_u32_e64 v122, s0, s13, v87, s0
	v_add_co_u32 v123, s0, s12, v88
	s_clause 0x5
	global_load_dwordx4 v[16:19], v0, s[12:13] offset:768
	global_load_dwordx4 v[12:15], v0, s[12:13] offset:784
	;; [unrolled: 1-line block ×6, first 2 shown]
	ds_read_b128 v[4:7], v198
	ds_read_b128 v[0:3], v198 offset:816
	ds_read_b128 v[64:67], v198 offset:1632
	;; [unrolled: 1-line block ×13, first 2 shown]
	v_add_co_ci_u32_e64 v124, s0, s13, v89, s0
	s_mov_b32 s14, 0x37e14327
	s_mov_b32 s4, 0x36b3c0b5
	;; [unrolled: 1-line block ×20, first 2 shown]
	s_waitcnt vmcnt(0) lgkmcnt(0)
	s_barrier
	buffer_gl0_inv
	v_mul_f64 v[86:87], v[66:67], v[18:19]
	v_mul_f64 v[88:89], v[64:65], v[18:19]
	;; [unrolled: 1-line block ×24, first 2 shown]
	v_fma_f64 v[64:65], v[64:65], v[16:17], -v[86:87]
	v_fma_f64 v[66:67], v[66:67], v[16:17], v[88:89]
	v_fma_f64 v[68:69], v[68:69], v[12:13], -v[90:91]
	v_fma_f64 v[70:71], v[70:71], v[12:13], v[92:93]
	;; [unrolled: 2-line block ×12, first 2 shown]
	v_add_f64 v[22:23], v[64:65], v[76:77]
	v_add_f64 v[32:33], v[66:67], v[78:79]
	;; [unrolled: 1-line block ×4, first 2 shown]
	v_add_f64 v[48:49], v[68:69], -v[72:73]
	v_add_f64 v[50:51], v[70:71], -v[74:75]
	v_add_f64 v[42:43], v[56:57], v[60:61]
	v_add_f64 v[46:47], v[58:59], v[62:63]
	v_add_f64 v[52:53], v[60:61], -v[56:57]
	v_add_f64 v[54:55], v[62:63], -v[58:59]
	v_add_f64 v[56:57], v[44:45], v[18:19]
	v_add_f64 v[58:59], v[16:17], v[24:25]
	;; [unrolled: 4-line block ×4, first 2 shown]
	v_add_f64 v[10:11], v[10:11], -v[30:31]
	v_add_f64 v[8:9], v[20:21], -v[8:9]
	;; [unrolled: 1-line block ×4, first 2 shown]
	v_add_f64 v[20:21], v[34:35], v[22:23]
	v_add_f64 v[30:31], v[36:37], v[32:33]
	v_add_f64 v[60:61], v[34:35], -v[22:23]
	v_add_f64 v[62:63], v[36:37], -v[32:33]
	;; [unrolled: 1-line block ×6, first 2 shown]
	v_add_f64 v[64:65], v[52:53], v[48:49]
	v_add_f64 v[66:67], v[54:55], v[50:51]
	v_add_f64 v[68:69], v[52:53], -v[48:49]
	v_add_f64 v[70:71], v[54:55], -v[50:51]
	v_add_f64 v[72:73], v[24:25], v[56:57]
	v_add_f64 v[74:75], v[44:45], v[58:59]
	v_add_f64 v[76:77], v[24:25], -v[56:57]
	v_add_f64 v[78:79], v[44:45], -v[58:59]
	v_add_f64 v[56:57], v[56:57], -v[26:27]
	v_add_f64 v[58:59], v[58:59], -v[28:29]
	v_add_f64 v[24:25], v[26:27], -v[24:25]
	v_add_f64 v[44:45], v[28:29], -v[44:45]
	v_add_f64 v[48:49], v[48:49], -v[38:39]
	v_add_f64 v[50:51], v[50:51], -v[40:41]
	v_add_f64 v[20:21], v[42:43], v[20:21]
	v_add_f64 v[30:31], v[46:47], v[30:31]
	;; [unrolled: 1-line block ×4, first 2 shown]
	v_add_f64 v[90:91], v[10:11], -v[14:15]
	v_add_f64 v[92:93], v[8:9], -v[12:13]
	;; [unrolled: 1-line block ×6, first 2 shown]
	v_add_f64 v[38:39], v[64:65], v[38:39]
	v_add_f64 v[40:41], v[66:67], v[40:41]
	;; [unrolled: 1-line block ×4, first 2 shown]
	v_mul_f64 v[22:23], v[22:23], s[14:15]
	v_mul_f64 v[32:33], v[32:33], s[14:15]
	;; [unrolled: 1-line block ×8, first 2 shown]
	v_add_f64 v[4:5], v[4:5], v[20:21]
	v_add_f64 v[6:7], v[6:7], v[30:31]
	v_add_f64 v[10:11], v[18:19], -v[10:11]
	v_add_f64 v[8:9], v[16:17], -v[8:9]
	v_add_f64 v[18:19], v[86:87], v[18:19]
	v_add_f64 v[16:17], v[88:89], v[16:17]
	v_mul_f64 v[56:57], v[56:57], s[14:15]
	v_mul_f64 v[58:59], v[58:59], s[14:15]
	;; [unrolled: 1-line block ×6, first 2 shown]
	v_add_f64 v[0:1], v[0:1], v[26:27]
	v_add_f64 v[2:3], v[2:3], v[28:29]
	v_mul_f64 v[72:73], v[24:25], s[4:5]
	v_mul_f64 v[74:75], v[44:45], s[4:5]
	v_fma_f64 v[34:35], v[34:35], s[4:5], v[22:23]
	v_fma_f64 v[36:37], v[36:37], s[4:5], v[32:33]
	v_fma_f64 v[42:43], v[60:61], s[18:19], -v[42:43]
	v_fma_f64 v[46:47], v[62:63], s[18:19], -v[46:47]
	;; [unrolled: 1-line block ×4, first 2 shown]
	v_fma_f64 v[60:61], v[52:53], s[22:23], v[64:65]
	v_fma_f64 v[62:63], v[54:55], s[22:23], v[66:67]
	;; [unrolled: 1-line block ×4, first 2 shown]
	v_fma_f64 v[48:49], v[48:49], s[6:7], -v[64:65]
	v_fma_f64 v[50:51], v[50:51], s[6:7], -v[66:67]
	;; [unrolled: 1-line block ×4, first 2 shown]
	v_fma_f64 v[24:25], v[24:25], s[4:5], v[56:57]
	v_fma_f64 v[44:45], v[44:45], s[4:5], v[58:59]
	;; [unrolled: 1-line block ×6, first 2 shown]
	v_fma_f64 v[10:11], v[10:11], s[24:25], -v[90:91]
	v_fma_f64 v[8:9], v[8:9], s[24:25], -v[92:93]
	;; [unrolled: 1-line block ×8, first 2 shown]
	v_fma_f64 v[60:61], v[38:39], s[20:21], v[60:61]
	v_fma_f64 v[62:63], v[40:41], s[20:21], v[62:63]
	v_add_f64 v[34:35], v[34:35], v[20:21]
	v_add_f64 v[36:37], v[36:37], v[30:31]
	v_fma_f64 v[48:49], v[38:39], s[20:21], v[48:49]
	v_fma_f64 v[50:51], v[40:41], s[20:21], v[50:51]
	;; [unrolled: 1-line block ×4, first 2 shown]
	v_add_f64 v[52:53], v[22:23], v[20:21]
	v_add_f64 v[32:33], v[32:33], v[30:31]
	;; [unrolled: 1-line block ×4, first 2 shown]
	v_fma_f64 v[54:55], v[18:19], s[20:21], v[68:69]
	v_fma_f64 v[68:69], v[16:17], s[20:21], v[70:71]
	v_add_f64 v[76:77], v[24:25], v[26:27]
	v_add_f64 v[78:79], v[44:45], v[28:29]
	v_fma_f64 v[72:73], v[18:19], s[20:21], v[10:11]
	v_fma_f64 v[74:75], v[16:17], s[20:21], v[8:9]
	v_add_f64 v[56:57], v[56:57], v[26:27]
	v_add_f64 v[58:59], v[58:59], v[28:29]
	;; [unrolled: 4-line block ×3, first 2 shown]
	v_add_f64 v[8:9], v[62:63], v[34:35]
	v_add_f64 v[10:11], v[36:37], -v[60:61]
	v_add_f64 v[28:29], v[34:35], -v[62:63]
	v_add_f64 v[30:31], v[60:61], v[36:37]
	v_add_co_u32 v66, s0, 0x1000, v83
	v_add_f64 v[12:13], v[40:41], v[52:53]
	v_add_f64 v[14:15], v[32:33], -v[38:39]
	v_add_f64 v[16:17], v[20:21], -v[50:51]
	v_add_f64 v[18:19], v[48:49], v[22:23]
	v_add_f64 v[20:21], v[50:51], v[20:21]
	v_add_f64 v[22:23], v[22:23], -v[48:49]
	v_add_f64 v[24:25], v[52:53], -v[40:41]
	v_add_f64 v[26:27], v[38:39], v[32:33]
	v_add_f64 v[32:33], v[68:69], v[76:77]
	v_add_f64 v[34:35], v[78:79], -v[54:55]
	v_add_f64 v[36:37], v[74:75], v[56:57]
	v_add_f64 v[38:39], v[58:59], -v[72:73]
	v_add_f64 v[48:49], v[56:57], -v[74:75]
	v_add_f64 v[50:51], v[72:73], v[58:59]
	v_add_f64 v[40:41], v[44:45], -v[70:71]
	v_add_f64 v[42:43], v[46:47], v[64:65]
	v_add_f64 v[44:45], v[70:71], v[44:45]
	v_add_f64 v[46:47], v[64:65], -v[46:47]
	v_add_f64 v[52:53], v[76:77], -v[68:69]
	v_add_f64 v[54:55], v[54:55], v[78:79]
	v_add_co_ci_u32_e64 v67, s0, 0, v122, s0
	v_add_co_u32 v56, s0, 0x1800, v123
	v_add_co_ci_u32_e64 v57, s0, 0, v124, s0
	v_add_co_u32 v58, s0, 0x2000, v123
	v_add_co_ci_u32_e64 v59, s0, 0, v124, s0
	ds_write_b128 v198, v[4:7]
	ds_write_b128 v198, v[0:3] offset:5712
	ds_write_b128 v198, v[8:11] offset:816
	;; [unrolled: 1-line block ×13, first 2 shown]
	v_add_co_u32 v24, s0, 0x2800, v123
	s_waitcnt lgkmcnt(0)
	s_barrier
	buffer_gl0_inv
	s_clause 0x3
	global_load_dwordx4 v[0:3], v[66:67], off offset:1568
	global_load_dwordx4 v[4:7], v[56:57], off offset:336
	;; [unrolled: 1-line block ×4, first 2 shown]
	v_add_co_ci_u32_e64 v25, s0, 0, v124, s0
	s_clause 0x2
	global_load_dwordx4 v[16:19], v[58:59], off offset:736
	global_load_dwordx4 v[20:23], v[58:59], off offset:1552
	;; [unrolled: 1-line block ×3, first 2 shown]
	ds_read_b128 v[28:31], v198 offset:5712
	ds_read_b128 v[32:35], v198 offset:6528
	;; [unrolled: 1-line block ×8, first 2 shown]
	ds_read_b128 v[60:63], v198
	ds_read_b128 v[64:67], v198 offset:816
	ds_read_b128 v[68:71], v198 offset:1632
	;; [unrolled: 1-line block ×5, first 2 shown]
	s_waitcnt vmcnt(0) lgkmcnt(0)
	s_barrier
	buffer_gl0_inv
	v_mul_f64 v[90:91], v[30:31], v[2:3]
	v_mul_f64 v[2:3], v[28:29], v[2:3]
	;; [unrolled: 1-line block ×14, first 2 shown]
	v_fma_f64 v[28:29], v[28:29], v[0:1], -v[90:91]
	v_fma_f64 v[2:3], v[30:31], v[0:1], v[2:3]
	v_fma_f64 v[30:31], v[32:33], v[4:5], -v[92:93]
	v_fma_f64 v[6:7], v[34:35], v[4:5], v[6:7]
	;; [unrolled: 2-line block ×7, first 2 shown]
	v_add_f64 v[0:1], v[60:61], -v[28:29]
	v_add_f64 v[2:3], v[62:63], -v[2:3]
	;; [unrolled: 1-line block ×14, first 2 shown]
	v_fma_f64 v[28:29], v[60:61], 2.0, -v[0:1]
	v_fma_f64 v[30:31], v[62:63], 2.0, -v[2:3]
	;; [unrolled: 1-line block ×14, first 2 shown]
	ds_write_b128 v198, v[0:3] offset:5712
	ds_write_b128 v198, v[4:7] offset:6528
	;; [unrolled: 1-line block ×7, first 2 shown]
	ds_write_b128 v198, v[28:31]
	ds_write_b128 v198, v[32:35] offset:816
	ds_write_b128 v198, v[36:39] offset:1632
	;; [unrolled: 1-line block ×6, first 2 shown]
	s_waitcnt lgkmcnt(0)
	s_barrier
	buffer_gl0_inv
	s_and_saveexec_b32 s0, vcc_lo
	s_cbranch_execz .LBB0_27
; %bb.26:
	v_mul_lo_u32 v2, s3, v84
	v_mul_lo_u32 v3, s2, v85
	v_mad_u64_u32 v[0:1], null, s2, v84, 0
	v_mov_b32_e32 v83, 0
	v_lshl_add_u32 v30, v82, 4, 0
	v_lshlrev_b64 v[12:13], 4, v[80:81]
	v_add_nc_u32_e32 v14, 51, v82
	v_add_nc_u32_e32 v16, 0x66, v82
	v_mov_b32_e32 v15, v83
	v_add3_u32 v1, v1, v3, v2
	v_lshlrev_b64 v[18:19], 4, v[82:83]
	v_mov_b32_e32 v17, v83
	v_add_nc_u32_e32 v22, 0x99, v82
	v_mov_b32_e32 v23, v83
	v_lshlrev_b64 v[8:9], 4, v[0:1]
	ds_read_b128 v[0:3], v30
	ds_read_b128 v[4:7], v30 offset:816
	v_lshlrev_b64 v[16:17], 4, v[16:17]
	v_add_nc_u32_e32 v28, 0x198, v82
	v_mov_b32_e32 v29, v83
	v_add_co_u32 v20, vcc_lo, s10, v8
	v_add_co_ci_u32_e32 v21, vcc_lo, s11, v9, vcc_lo
	ds_read_b128 v[8:11], v30 offset:1632
	v_add_co_u32 v31, vcc_lo, v20, v12
	v_add_co_ci_u32_e32 v32, vcc_lo, v21, v13, vcc_lo
	v_lshlrev_b64 v[12:13], 4, v[14:15]
	v_add_co_u32 v18, vcc_lo, v31, v18
	v_add_co_ci_u32_e32 v19, vcc_lo, v32, v19, vcc_lo
	v_add_co_u32 v20, vcc_lo, v31, v12
	v_add_co_ci_u32_e32 v21, vcc_lo, v32, v13, vcc_lo
	ds_read_b128 v[12:15], v30 offset:2448
	s_waitcnt lgkmcnt(3)
	global_store_dwordx4 v[18:19], v[0:3], off
	s_waitcnt lgkmcnt(2)
	global_store_dwordx4 v[20:21], v[4:7], off
	v_lshlrev_b64 v[0:1], 4, v[22:23]
	v_add_co_u32 v2, vcc_lo, v31, v16
	v_add_co_ci_u32_e32 v3, vcc_lo, v32, v17, vcc_lo
	v_add_nc_u32_e32 v4, 0xcc, v82
	v_add_co_u32 v0, vcc_lo, v31, v0
	v_add_co_ci_u32_e32 v1, vcc_lo, v32, v1, vcc_lo
	v_mov_b32_e32 v5, v83
	s_waitcnt lgkmcnt(1)
	global_store_dwordx4 v[2:3], v[8:11], off
	v_add_nc_u32_e32 v8, 0xff, v82
	v_mov_b32_e32 v9, v83
	v_add_nc_u32_e32 v16, 0x132, v82
	v_mov_b32_e32 v17, v83
	s_waitcnt lgkmcnt(0)
	global_store_dwordx4 v[0:1], v[12:15], off
	v_lshlrev_b64 v[12:13], 4, v[4:5]
	ds_read_b128 v[0:3], v30 offset:3264
	ds_read_b128 v[4:7], v30 offset:4080
	v_lshlrev_b64 v[14:15], 4, v[8:9]
	ds_read_b128 v[8:11], v30 offset:4896
	v_add_co_u32 v20, vcc_lo, v31, v12
	v_add_co_ci_u32_e32 v21, vcc_lo, v32, v13, vcc_lo
	v_lshlrev_b64 v[12:13], 4, v[16:17]
	v_add_nc_u32_e32 v16, 0x165, v82
	v_add_co_u32 v22, vcc_lo, v31, v14
	v_add_co_ci_u32_e32 v23, vcc_lo, v32, v15, vcc_lo
	v_lshlrev_b64 v[26:27], 4, v[16:17]
	ds_read_b128 v[16:19], v30 offset:6528
	v_add_co_u32 v24, vcc_lo, v31, v12
	v_add_co_ci_u32_e32 v25, vcc_lo, v32, v13, vcc_lo
	ds_read_b128 v[12:15], v30 offset:5712
	s_waitcnt lgkmcnt(4)
	global_store_dwordx4 v[20:21], v[0:3], off
	s_waitcnt lgkmcnt(3)
	global_store_dwordx4 v[22:23], v[4:7], off
	;; [unrolled: 2-line block ×3, first 2 shown]
	v_lshlrev_b64 v[0:1], 4, v[28:29]
	v_add_co_u32 v2, vcc_lo, v31, v26
	v_add_co_ci_u32_e32 v3, vcc_lo, v32, v27, vcc_lo
	v_add_nc_u32_e32 v4, 0x1cb, v82
	v_mov_b32_e32 v5, v83
	v_add_co_u32 v6, vcc_lo, v31, v0
	v_add_co_ci_u32_e32 v7, vcc_lo, v32, v1, vcc_lo
	v_add_nc_u32_e32 v8, 0x1fe, v82
	v_mov_b32_e32 v9, v83
	v_lshlrev_b64 v[4:5], 4, v[4:5]
	s_waitcnt lgkmcnt(1)
	global_store_dwordx4 v[6:7], v[16:19], off
	v_add_nc_u32_e32 v24, 0x264, v82
	v_mov_b32_e32 v25, v83
	v_lshlrev_b64 v[6:7], 4, v[8:9]
	s_waitcnt lgkmcnt(0)
	global_store_dwordx4 v[2:3], v[12:15], off
	v_add_co_u32 v20, vcc_lo, v31, v4
	v_add_nc_u32_e32 v12, 0x231, v82
	v_mov_b32_e32 v13, v83
	v_add_co_ci_u32_e32 v21, vcc_lo, v32, v5, vcc_lo
	v_add_co_u32 v22, vcc_lo, v31, v6
	ds_read_b128 v[0:3], v30 offset:7344
	v_add_co_ci_u32_e32 v23, vcc_lo, v32, v7, vcc_lo
	ds_read_b128 v[4:7], v30 offset:8160
	ds_read_b128 v[8:11], v30 offset:8976
	v_lshlrev_b64 v[26:27], 4, v[12:13]
	ds_read_b128 v[12:15], v30 offset:9792
	ds_read_b128 v[16:19], v30 offset:10608
	v_add_nc_u32_e32 v82, 0x297, v82
	v_lshlrev_b64 v[24:25], 4, v[24:25]
	v_add_co_u32 v26, vcc_lo, v31, v26
	v_lshlrev_b64 v[28:29], 4, v[82:83]
	v_add_co_ci_u32_e32 v27, vcc_lo, v32, v27, vcc_lo
	v_add_co_u32 v24, vcc_lo, v31, v24
	v_add_co_ci_u32_e32 v25, vcc_lo, v32, v25, vcc_lo
	v_add_co_u32 v28, vcc_lo, v31, v28
	v_add_co_ci_u32_e32 v29, vcc_lo, v32, v29, vcc_lo
	s_waitcnt lgkmcnt(4)
	global_store_dwordx4 v[20:21], v[0:3], off
	s_waitcnt lgkmcnt(3)
	global_store_dwordx4 v[22:23], v[4:7], off
	;; [unrolled: 2-line block ×5, first 2 shown]
.LBB0_27:
	s_endpgm
	.section	.rodata,"a",@progbits
	.p2align	6, 0x0
	.amdhsa_kernel fft_rtc_fwd_len714_factors_3_17_7_2_wgs_51_tpt_51_halfLds_dp_op_CI_CI_unitstride_sbrr_C2R_dirReg
		.amdhsa_group_segment_fixed_size 0
		.amdhsa_private_segment_fixed_size 0
		.amdhsa_kernarg_size 104
		.amdhsa_user_sgpr_count 6
		.amdhsa_user_sgpr_private_segment_buffer 1
		.amdhsa_user_sgpr_dispatch_ptr 0
		.amdhsa_user_sgpr_queue_ptr 0
		.amdhsa_user_sgpr_kernarg_segment_ptr 1
		.amdhsa_user_sgpr_dispatch_id 0
		.amdhsa_user_sgpr_flat_scratch_init 0
		.amdhsa_user_sgpr_private_segment_size 0
		.amdhsa_wavefront_size32 1
		.amdhsa_uses_dynamic_stack 0
		.amdhsa_system_sgpr_private_segment_wavefront_offset 0
		.amdhsa_system_sgpr_workgroup_id_x 1
		.amdhsa_system_sgpr_workgroup_id_y 0
		.amdhsa_system_sgpr_workgroup_id_z 0
		.amdhsa_system_sgpr_workgroup_info 0
		.amdhsa_system_vgpr_workitem_id 0
		.amdhsa_next_free_vgpr 230
		.amdhsa_next_free_sgpr 56
		.amdhsa_reserve_vcc 1
		.amdhsa_reserve_flat_scratch 0
		.amdhsa_float_round_mode_32 0
		.amdhsa_float_round_mode_16_64 0
		.amdhsa_float_denorm_mode_32 3
		.amdhsa_float_denorm_mode_16_64 3
		.amdhsa_dx10_clamp 1
		.amdhsa_ieee_mode 1
		.amdhsa_fp16_overflow 0
		.amdhsa_workgroup_processor_mode 1
		.amdhsa_memory_ordered 1
		.amdhsa_forward_progress 0
		.amdhsa_shared_vgpr_count 0
		.amdhsa_exception_fp_ieee_invalid_op 0
		.amdhsa_exception_fp_denorm_src 0
		.amdhsa_exception_fp_ieee_div_zero 0
		.amdhsa_exception_fp_ieee_overflow 0
		.amdhsa_exception_fp_ieee_underflow 0
		.amdhsa_exception_fp_ieee_inexact 0
		.amdhsa_exception_int_div_zero 0
	.end_amdhsa_kernel
	.text
.Lfunc_end0:
	.size	fft_rtc_fwd_len714_factors_3_17_7_2_wgs_51_tpt_51_halfLds_dp_op_CI_CI_unitstride_sbrr_C2R_dirReg, .Lfunc_end0-fft_rtc_fwd_len714_factors_3_17_7_2_wgs_51_tpt_51_halfLds_dp_op_CI_CI_unitstride_sbrr_C2R_dirReg
                                        ; -- End function
	.section	.AMDGPU.csdata,"",@progbits
; Kernel info:
; codeLenInByte = 14916
; NumSgprs: 58
; NumVgprs: 230
; ScratchSize: 0
; MemoryBound: 0
; FloatMode: 240
; IeeeMode: 1
; LDSByteSize: 0 bytes/workgroup (compile time only)
; SGPRBlocks: 7
; VGPRBlocks: 28
; NumSGPRsForWavesPerEU: 58
; NumVGPRsForWavesPerEU: 230
; Occupancy: 4
; WaveLimiterHint : 1
; COMPUTE_PGM_RSRC2:SCRATCH_EN: 0
; COMPUTE_PGM_RSRC2:USER_SGPR: 6
; COMPUTE_PGM_RSRC2:TRAP_HANDLER: 0
; COMPUTE_PGM_RSRC2:TGID_X_EN: 1
; COMPUTE_PGM_RSRC2:TGID_Y_EN: 0
; COMPUTE_PGM_RSRC2:TGID_Z_EN: 0
; COMPUTE_PGM_RSRC2:TIDIG_COMP_CNT: 0
	.text
	.p2alignl 6, 3214868480
	.fill 48, 4, 3214868480
	.type	__hip_cuid_f1f1f1e01641f2f0,@object ; @__hip_cuid_f1f1f1e01641f2f0
	.section	.bss,"aw",@nobits
	.globl	__hip_cuid_f1f1f1e01641f2f0
__hip_cuid_f1f1f1e01641f2f0:
	.byte	0                               ; 0x0
	.size	__hip_cuid_f1f1f1e01641f2f0, 1

	.ident	"AMD clang version 19.0.0git (https://github.com/RadeonOpenCompute/llvm-project roc-6.4.0 25133 c7fe45cf4b819c5991fe208aaa96edf142730f1d)"
	.section	".note.GNU-stack","",@progbits
	.addrsig
	.addrsig_sym __hip_cuid_f1f1f1e01641f2f0
	.amdgpu_metadata
---
amdhsa.kernels:
  - .args:
      - .actual_access:  read_only
        .address_space:  global
        .offset:         0
        .size:           8
        .value_kind:     global_buffer
      - .offset:         8
        .size:           8
        .value_kind:     by_value
      - .actual_access:  read_only
        .address_space:  global
        .offset:         16
        .size:           8
        .value_kind:     global_buffer
      - .actual_access:  read_only
        .address_space:  global
        .offset:         24
        .size:           8
        .value_kind:     global_buffer
      - .actual_access:  read_only
        .address_space:  global
        .offset:         32
        .size:           8
        .value_kind:     global_buffer
      - .offset:         40
        .size:           8
        .value_kind:     by_value
      - .actual_access:  read_only
        .address_space:  global
        .offset:         48
        .size:           8
        .value_kind:     global_buffer
      - .actual_access:  read_only
        .address_space:  global
        .offset:         56
        .size:           8
        .value_kind:     global_buffer
      - .offset:         64
        .size:           4
        .value_kind:     by_value
      - .actual_access:  read_only
        .address_space:  global
        .offset:         72
        .size:           8
        .value_kind:     global_buffer
      - .actual_access:  read_only
        .address_space:  global
        .offset:         80
        .size:           8
        .value_kind:     global_buffer
      - .actual_access:  read_only
        .address_space:  global
        .offset:         88
        .size:           8
        .value_kind:     global_buffer
      - .actual_access:  write_only
        .address_space:  global
        .offset:         96
        .size:           8
        .value_kind:     global_buffer
    .group_segment_fixed_size: 0
    .kernarg_segment_align: 8
    .kernarg_segment_size: 104
    .language:       OpenCL C
    .language_version:
      - 2
      - 0
    .max_flat_workgroup_size: 51
    .name:           fft_rtc_fwd_len714_factors_3_17_7_2_wgs_51_tpt_51_halfLds_dp_op_CI_CI_unitstride_sbrr_C2R_dirReg
    .private_segment_fixed_size: 0
    .sgpr_count:     58
    .sgpr_spill_count: 0
    .symbol:         fft_rtc_fwd_len714_factors_3_17_7_2_wgs_51_tpt_51_halfLds_dp_op_CI_CI_unitstride_sbrr_C2R_dirReg.kd
    .uniform_work_group_size: 1
    .uses_dynamic_stack: false
    .vgpr_count:     230
    .vgpr_spill_count: 0
    .wavefront_size: 32
    .workgroup_processor_mode: 1
amdhsa.target:   amdgcn-amd-amdhsa--gfx1030
amdhsa.version:
  - 1
  - 2
...

	.end_amdgpu_metadata
